;; amdgpu-corpus repo=ROCm/rocFFT kind=compiled arch=gfx950 opt=O3
	.text
	.amdgcn_target "amdgcn-amd-amdhsa--gfx950"
	.amdhsa_code_object_version 6
	.protected	bluestein_single_back_len1280_dim1_dp_op_CI_CI ; -- Begin function bluestein_single_back_len1280_dim1_dp_op_CI_CI
	.globl	bluestein_single_back_len1280_dim1_dp_op_CI_CI
	.p2align	8
	.type	bluestein_single_back_len1280_dim1_dp_op_CI_CI,@function
bluestein_single_back_len1280_dim1_dp_op_CI_CI: ; @bluestein_single_back_len1280_dim1_dp_op_CI_CI
; %bb.0:
	s_load_dwordx4 s[12:15], s[0:1], 0x28
	v_mul_u32_u24_e32 v1, 0x334, v0
	v_add_u32_sdwa v10, s2, v1 dst_sel:DWORD dst_unused:UNUSED_PAD src0_sel:DWORD src1_sel:WORD_1
	v_mov_b32_e32 v11, 0
	s_waitcnt lgkmcnt(0)
	v_cmp_gt_u64_e32 vcc, s[12:13], v[10:11]
	s_and_saveexec_b64 s[2:3], vcc
	s_cbranch_execz .LBB0_10
; %bb.1:
	s_load_dwordx4 s[4:7], s[0:1], 0x18
	s_load_dwordx4 s[8:11], s[0:1], 0x0
	v_mov_b32_e32 v2, s14
	v_mov_b32_e32 v3, s15
	s_movk_i32 s2, 0x50
	s_waitcnt lgkmcnt(0)
	s_load_dwordx4 s[12:15], s[4:5], 0x0
	v_mul_lo_u16_sdwa v1, v1, s2 dst_sel:DWORD dst_unused:UNUSED_PAD src0_sel:WORD_1 src1_sel:DWORD
	v_sub_u16_e32 v8, v0, v1
	v_lshlrev_b32_e32 v232, 4, v8
	v_mov_b32_e32 v233, v11
	s_waitcnt lgkmcnt(0)
	v_mad_u64_u32 v[0:1], s[2:3], s14, v10, 0
	v_mov_b32_e32 v4, v1
	v_mad_u64_u32 v[4:5], s[2:3], s15, v10, v[4:5]
	v_mov_b32_e32 v1, v4
	v_mad_u64_u32 v[4:5], s[2:3], s12, v8, 0
	v_mov_b32_e32 v6, v5
	v_mad_u64_u32 v[6:7], s[2:3], s13, v8, v[6:7]
	v_mov_b32_e32 v5, v6
	v_lshl_add_u64 v[20:21], v[0:1], 4, v[2:3]
	v_lshl_add_u64 v[0:1], v[4:5], 4, v[20:21]
	v_mov_b32_e32 v2, 0x500
	v_mad_u64_u32 v[4:5], s[2:3], s12, v2, v[0:1]
	s_mul_i32 s2, s13, 0x500
	s_nop 0
	v_add_u32_e32 v5, s2, v5
	v_mad_u64_u32 v[6:7], s[4:5], s12, v2, v[4:5]
	v_add_u32_e32 v7, s2, v7
	s_movk_i32 s3, 0x1000
	v_lshl_add_u64 v[28:29], s[8:9], 0, v[232:233]
	v_mad_u64_u32 v[22:23], s[4:5], s12, v2, v[6:7]
	v_add_co_u32_e32 v24, vcc, s3, v28
	global_load_dwordx4 v[64:67], v[0:1], off
	s_movk_i32 s4, 0x2000
	v_or_b32_e32 v0, 0x280, v8
	v_addc_co_u32_e32 v25, vcc, 0, v29, vcc
	v_lshlrev_b32_e32 v9, 4, v0
	v_add_co_u32_e32 v26, vcc, s4, v28
	global_load_dwordx4 v[12:15], v232, s[8:9]
	global_load_dwordx4 v[132:135], v232, s[8:9] offset:1280
	global_load_dwordx4 v[72:75], v[4:5], off
	global_load_dwordx4 v[68:71], v[6:7], off
	global_load_dwordx4 v[16:19], v232, s[8:9] offset:2560
	global_load_dwordx4 v[136:139], v232, s[8:9] offset:3840
	v_addc_co_u32_e32 v27, vcc, 0, v29, vcc
	global_load_dwordx4 v[4:7], v9, s[8:9]
	global_load_dwordx4 v[60:63], v[24:25], off offset:1024
	global_load_dwordx4 v[56:59], v[24:25], off offset:2304
	;; [unrolled: 1-line block ×4, first 2 shown]
	v_mad_u64_u32 v[24:25], s[4:5], s12, v0, 0
	v_mov_b32_e32 v30, v25
	v_mad_u64_u32 v[30:31], s[4:5], s13, v0, v[30:31]
	v_mov_b32_e32 v25, v30
	v_add_u32_e32 v23, s2, v23
	v_lshl_add_u64 v[20:21], v[24:25], 4, v[20:21]
	global_load_dwordx4 v[76:79], v[20:21], off
	global_load_dwordx4 v[96:99], v[22:23], off
	v_mad_u64_u32 v[20:21], s[4:5], s12, v2, v[22:23]
	v_add_u32_e32 v21, s2, v21
	global_load_dwordx4 v[92:95], v[20:21], off
	v_mad_u64_u32 v[20:21], s[4:5], s12, v2, v[20:21]
	v_add_u32_e32 v21, s2, v21
	;; [unrolled: 3-line block ×4, first 2 shown]
	v_accvgpr_write_b32 a1, v0
	global_load_dwordx4 v[80:83], v[20:21], off
	v_mov_b32_e32 v0, 0xa00
	v_mad_u64_u32 v[20:21], s[4:5], s12, v0, v[20:21]
	s_mul_i32 s3, s13, 0xa00
	v_add_u32_e32 v21, s3, v21
	global_load_dwordx4 v[100:103], v[20:21], off
	global_load_dwordx4 v[36:39], v[26:27], off offset:3328
	v_mad_u64_u32 v[20:21], s[4:5], s12, v2, v[20:21]
	s_movk_i32 s3, 0x3000
	v_add_u32_e32 v21, s2, v21
	v_add_co_u32_e32 v30, vcc, s3, v28
	global_load_dwordx4 v[104:107], v[20:21], off
	s_nop 0
	v_addc_co_u32_e32 v31, vcc, 0, v29, vcc
	v_mad_u64_u32 v[20:21], s[4:5], s12, v2, v[20:21]
	global_load_dwordx4 v[24:27], v[30:31], off offset:512
	v_add_u32_e32 v21, s2, v21
	v_mad_u64_u32 v[40:41], s[4:5], s12, v2, v[20:21]
	global_load_dwordx4 v[108:111], v[20:21], off
	v_add_u32_e32 v41, s2, v41
	global_load_dwordx4 v[112:115], v[40:41], off
	global_load_dwordx4 v[52:55], v[30:31], off offset:1792
	global_load_dwordx4 v[20:23], v[30:31], off offset:3072
	s_movk_i32 s3, 0x4000
	v_mad_u64_u32 v[30:31], s[4:5], s12, v2, v[40:41]
	v_add_co_u32_e32 v40, vcc, s3, v28
	v_add_u32_e32 v31, s2, v31
	s_nop 0
	v_addc_co_u32_e32 v41, vcc, 0, v29, vcc
	global_load_dwordx4 v[116:119], v[30:31], off
	global_load_dwordx4 v[44:47], v[40:41], off offset:256
	v_mad_u64_u32 v[42:43], s[4:5], s12, v2, v[30:31]
	v_add_u32_e32 v43, s2, v43
	global_load_dwordx4 v[120:123], v[42:43], off
	global_load_dwordx4 v[28:31], v[40:41], off offset:1536
	v_mad_u64_u32 v[42:43], s[4:5], s12, v2, v[42:43]
	v_add_u32_e32 v43, s2, v43
	global_load_dwordx4 v[124:127], v[42:43], off
	s_nop 0
	global_load_dwordx4 v[40:43], v[40:41], off offset:2816
	s_load_dwordx4 s[4:7], s[6:7], 0x0
	v_lshlrev_b16_e32 v0, 4, v8
	s_mov_b32 s2, 0x667f3bcd
	s_waitcnt vmcnt(30)
	v_mul_f64 v[128:129], v[66:67], v[14:15]
	v_mul_f64 v[130:131], v[64:65], v[14:15]
	v_fmac_f64_e32 v[128:129], v[64:65], v[12:13]
	v_fma_f64 v[130:131], v[66:67], v[12:13], -v[130:131]
	s_waitcnt vmcnt(28)
	v_mul_f64 v[64:65], v[74:75], v[134:135]
	v_mul_f64 v[66:67], v[72:73], v[134:135]
	v_fmac_f64_e32 v[64:65], v[72:73], v[132:133]
	v_fma_f64 v[66:67], v[74:75], v[132:133], -v[66:67]
	ds_write_b128 v232, v[64:67] offset:1280
	s_waitcnt vmcnt(26)
	v_mul_f64 v[64:65], v[70:71], v[18:19]
	v_mul_f64 v[66:67], v[68:69], v[18:19]
	v_fmac_f64_e32 v[64:65], v[68:69], v[16:17]
	v_fma_f64 v[66:67], v[70:71], v[16:17], -v[66:67]
	ds_write_b128 v232, v[64:67] offset:2560
	ds_write_b128 v232, v[128:131]
	v_accvgpr_write_b32 a4, v132
	v_accvgpr_write_b32 a5, v133
	s_waitcnt vmcnt(18)
	v_mul_f64 v[64:65], v[98:99], v[138:139]
	v_mul_f64 v[66:67], v[96:97], v[138:139]
	v_fmac_f64_e32 v[64:65], v[96:97], v[136:137]
	v_fma_f64 v[66:67], v[98:99], v[136:137], -v[66:67]
	ds_write_b128 v232, v[64:67] offset:3840
	s_waitcnt vmcnt(17)
	v_mul_f64 v[64:65], v[92:93], v[62:63]
	v_fma_f64 v[66:67], v[94:95], v[60:61], -v[64:65]
	v_mul_f64 v[64:65], v[94:95], v[62:63]
	v_fmac_f64_e32 v[64:65], v[92:93], v[60:61]
	ds_write_b128 v232, v[64:67] offset:5120
	s_waitcnt vmcnt(16)
	v_mul_f64 v[64:65], v[90:91], v[58:59]
	v_mul_f64 v[66:67], v[88:89], v[58:59]
	v_fmac_f64_e32 v[64:65], v[88:89], v[56:57]
	v_fma_f64 v[66:67], v[90:91], v[56:57], -v[66:67]
	ds_write_b128 v232, v[64:67] offset:6400
	s_waitcnt vmcnt(15)
	v_mul_f64 v[64:65], v[86:87], v[50:51]
	v_mul_f64 v[66:67], v[84:85], v[50:51]
	v_fmac_f64_e32 v[64:65], v[84:85], v[48:49]
	v_fma_f64 v[66:67], v[86:87], v[48:49], -v[66:67]
	;; [unrolled: 6-line block ×3, first 2 shown]
	ds_write_b128 v232, v[64:67] offset:8960
	v_mul_f64 v[64:65], v[78:79], v[6:7]
	v_mul_f64 v[66:67], v[76:77], v[6:7]
	v_fmac_f64_e32 v[64:65], v[76:77], v[4:5]
	v_fma_f64 v[66:67], v[78:79], v[4:5], -v[66:67]
	ds_write_b128 v232, v[64:67] offset:10240
	s_waitcnt vmcnt(12)
	v_mul_f64 v[64:65], v[102:103], v[38:39]
	v_mul_f64 v[66:67], v[100:101], v[38:39]
	v_fmac_f64_e32 v[64:65], v[100:101], v[36:37]
	v_fma_f64 v[66:67], v[102:103], v[36:37], -v[66:67]
	ds_write_b128 v232, v[64:67] offset:11520
	s_waitcnt vmcnt(10)
	;; [unrolled: 6-line block ×4, first 2 shown]
	v_mul_f64 v[64:65], v[114:115], v[22:23]
	v_mul_f64 v[66:67], v[112:113], v[22:23]
	v_fmac_f64_e32 v[64:65], v[112:113], v[20:21]
	v_fma_f64 v[66:67], v[114:115], v[20:21], -v[66:67]
	ds_write_b128 v232, v[64:67] offset:15360
	v_accvgpr_write_b32 a6, v134
	s_waitcnt vmcnt(4)
	v_mul_f64 v[64:65], v[118:119], v[46:47]
	v_mul_f64 v[66:67], v[116:117], v[46:47]
	v_fmac_f64_e32 v[64:65], v[116:117], v[44:45]
	v_fma_f64 v[66:67], v[118:119], v[44:45], -v[66:67]
	ds_write_b128 v232, v[64:67] offset:16640
	s_waitcnt vmcnt(2)
	v_mul_f64 v[64:65], v[122:123], v[30:31]
	v_mul_f64 v[66:67], v[120:121], v[30:31]
	v_fmac_f64_e32 v[64:65], v[120:121], v[28:29]
	v_fma_f64 v[66:67], v[122:123], v[28:29], -v[66:67]
	ds_write_b128 v232, v[64:67] offset:17920
	s_waitcnt vmcnt(0)
	v_mul_f64 v[64:65], v[126:127], v[42:43]
	v_mul_f64 v[66:67], v[124:125], v[42:43]
	v_fmac_f64_e32 v[64:65], v[124:125], v[40:41]
	v_fma_f64 v[66:67], v[126:127], v[40:41], -v[66:67]
	ds_write_b128 v232, v[64:67] offset:19200
	s_waitcnt lgkmcnt(0)
	s_barrier
	ds_read_b128 v[64:67], v232
	ds_read_b128 v[68:71], v232 offset:1280
	ds_read_b128 v[72:75], v232 offset:2560
	;; [unrolled: 1-line block ×11, first 2 shown]
	s_waitcnt lgkmcnt(5)
	v_add_f64 v[76:77], v[64:65], -v[76:77]
	v_add_f64 v[78:79], v[66:67], -v[78:79]
	v_accvgpr_write_b32 a7, v135
	s_waitcnt lgkmcnt(1)
	v_add_f64 v[92:93], v[84:85], -v[92:93]
	v_add_f64 v[94:95], v[86:87], -v[94:95]
	v_accvgpr_write_b32 a12, v136
	v_fma_f64 v[126:127], v[64:65], 2.0, -v[76:77]
	v_fma_f64 v[128:129], v[66:67], 2.0, -v[78:79]
	v_fma_f64 v[130:131], v[84:85], 2.0, -v[92:93]
	v_fma_f64 v[132:133], v[86:87], 2.0, -v[94:95]
	v_add_f64 v[84:85], v[72:73], -v[100:101]
	v_add_f64 v[86:87], v[74:75], -v[102:103]
	ds_read_b128 v[64:67], v232 offset:17920
	ds_read_b128 v[100:103], v232 offset:7680
	v_accvgpr_write_b32 a13, v137
	v_accvgpr_write_b32 a14, v138
	;; [unrolled: 1-line block ×3, first 2 shown]
	v_fma_f64 v[134:135], v[72:73], 2.0, -v[84:85]
	v_fma_f64 v[136:137], v[74:75], 2.0, -v[86:87]
	ds_read_b128 v[72:75], v232 offset:8960
	ds_read_b128 v[122:125], v232 offset:19200
	s_waitcnt lgkmcnt(2)
	v_add_f64 v[112:113], v[100:101], -v[64:65]
	v_add_f64 v[120:121], v[102:103], -v[66:67]
	v_fma_f64 v[64:65], v[100:101], 2.0, -v[112:113]
	v_fma_f64 v[66:67], v[102:103], 2.0, -v[120:121]
	v_add_f64 v[96:97], v[68:69], -v[96:97]
	v_add_f64 v[98:99], v[70:71], -v[98:99]
	;; [unrolled: 1-line block ×6, first 2 shown]
	s_waitcnt lgkmcnt(0)
	v_add_f64 v[118:119], v[72:73], -v[122:123]
	v_add_f64 v[138:139], v[74:75], -v[124:125]
	v_fma_f64 v[68:69], v[68:69], 2.0, -v[96:97]
	v_fma_f64 v[70:71], v[70:71], 2.0, -v[98:99]
	;; [unrolled: 1-line block ×8, first 2 shown]
	v_add_f64 v[72:73], v[126:127], -v[130:131]
	v_add_f64 v[74:75], v[128:129], -v[132:133]
	;; [unrolled: 1-line block ×8, first 2 shown]
	v_fma_f64 v[122:123], v[126:127], 2.0, -v[72:73]
	v_fma_f64 v[124:125], v[128:129], 2.0, -v[74:75]
	;; [unrolled: 1-line block ×8, first 2 shown]
	v_add_f64 v[68:69], v[122:123], -v[64:65]
	v_add_f64 v[70:71], v[124:125], -v[66:67]
	;; [unrolled: 1-line block ×4, first 2 shown]
	v_fma_f64 v[122:123], v[122:123], 2.0, -v[68:69]
	v_fma_f64 v[124:125], v[124:125], 2.0, -v[70:71]
	;; [unrolled: 1-line block ×4, first 2 shown]
	v_add_f64 v[64:65], v[122:123], -v[64:65]
	v_add_f64 v[66:67], v[124:125], -v[66:67]
	v_add_f64 v[92:93], v[78:79], v[92:93]
	v_add_f64 v[112:113], v[86:87], v[112:113]
	v_fma_f64 v[122:123], v[122:123], 2.0, -v[64:65]
	v_fma_f64 v[124:125], v[124:125], 2.0, -v[66:67]
	v_lshlrev_b32_e32 v233, 4, v0
	v_add_f64 v[94:95], v[76:77], -v[94:95]
	v_fma_f64 v[78:79], v[78:79], 2.0, -v[92:93]
	v_add_f64 v[120:121], v[84:85], -v[120:121]
	v_fma_f64 v[86:87], v[86:87], 2.0, -v[112:113]
	s_mov_b32 s3, 0xbfe6a09e
	s_barrier
	ds_write_b128 v233, v[122:125]
	v_fma_f64 v[76:77], v[76:77], 2.0, -v[94:95]
	v_fma_f64 v[84:85], v[84:85], 2.0, -v[120:121]
	v_fma_f64 v[124:125], s[2:3], v[86:87], v[78:79]
	s_mov_b32 s13, 0x3fe6a09e
	s_mov_b32 s12, s2
	v_add_f64 v[110:111], v[96:97], -v[110:111]
	v_fma_f64 v[122:123], s[2:3], v[84:85], v[76:77]
	v_fmac_f64_e32 v[124:125], s[12:13], v[84:85]
	v_add_f64 v[104:105], v[98:99], v[104:105]
	v_fma_f64 v[84:85], v[96:97], 2.0, -v[110:111]
	v_add_f64 v[96:97], v[100:101], -v[138:139]
	v_fmac_f64_e32 v[122:123], s[2:3], v[86:87]
	v_fma_f64 v[86:87], v[98:99], 2.0, -v[104:105]
	v_add_f64 v[98:99], v[102:103], v[118:119]
	v_fma_f64 v[100:101], v[100:101], 2.0, -v[96:97]
	v_fma_f64 v[102:103], v[102:103], 2.0, -v[98:99]
	v_fma_f64 v[118:119], s[2:3], v[100:101], v[84:85]
	v_fmac_f64_e32 v[118:119], s[2:3], v[102:103]
	v_fma_f64 v[102:103], s[2:3], v[102:103], v[86:87]
	v_fmac_f64_e32 v[102:103], s[12:13], v[100:101]
	s_mov_b32 s14, 0xcf328d46
	v_fma_f64 v[100:101], v[76:77], 2.0, -v[122:123]
	v_fma_f64 v[126:127], v[78:79], 2.0, -v[124:125]
	;; [unrolled: 1-line block ×4, first 2 shown]
	s_mov_b32 s15, 0xbfed906b
	s_mov_b32 s16, 0xa6aea964
	v_fma_f64 v[76:77], s[14:15], v[84:85], v[100:101]
	v_fma_f64 v[78:79], s[14:15], v[86:87], v[126:127]
	s_mov_b32 s17, 0xbfd87de2
	s_mov_b32 s19, 0x3fd87de2
	;; [unrolled: 1-line block ×3, first 2 shown]
	v_fmac_f64_e32 v[76:77], s[16:17], v[86:87]
	v_fmac_f64_e32 v[78:79], s[18:19], v[84:85]
	v_fma_f64 v[84:85], v[100:101], 2.0, -v[76:77]
	v_fma_f64 v[86:87], v[126:127], 2.0, -v[78:79]
	v_add_f64 v[100:101], v[72:73], -v[82:83]
	v_add_f64 v[126:127], v[74:75], v[80:81]
	v_add_f64 v[114:115], v[88:89], -v[114:115]
	v_add_f64 v[106:107], v[90:91], v[106:107]
	v_fma_f64 v[128:129], s[12:13], v[120:121], v[94:95]
	ds_write_b128 v233, v[84:87] offset:16
	v_fma_f64 v[80:81], v[72:73], 2.0, -v[100:101]
	v_fma_f64 v[82:83], v[74:75], 2.0, -v[126:127]
	;; [unrolled: 1-line block ×4, first 2 shown]
	v_fmac_f64_e32 v[128:129], s[2:3], v[112:113]
	v_fma_f64 v[112:113], s[12:13], v[112:113], v[92:93]
	v_fma_f64 v[72:73], s[2:3], v[84:85], v[80:81]
	;; [unrolled: 1-line block ×3, first 2 shown]
	v_fmac_f64_e32 v[112:113], s[12:13], v[120:121]
	v_fma_f64 v[120:121], s[12:13], v[96:97], v[110:111]
	v_fma_f64 v[130:131], s[12:13], v[98:99], v[104:105]
	v_fmac_f64_e32 v[72:73], s[2:3], v[86:87]
	v_fmac_f64_e32 v[74:75], s[12:13], v[84:85]
	;; [unrolled: 1-line block ×4, first 2 shown]
	v_fma_f64 v[80:81], v[80:81], 2.0, -v[72:73]
	v_fma_f64 v[82:83], v[82:83], 2.0, -v[74:75]
	;; [unrolled: 1-line block ×6, first 2 shown]
	ds_write_b128 v233, v[80:83] offset:32
	v_fma_f64 v[80:81], s[16:17], v[88:89], v[84:85]
	v_fma_f64 v[82:83], s[16:17], v[90:91], v[86:87]
	s_mov_b32 s21, 0x3fed906b
	s_mov_b32 s20, s14
	v_fmac_f64_e32 v[80:81], s[14:15], v[90:91]
	v_fmac_f64_e32 v[82:83], s[20:21], v[88:89]
	v_fma_f64 v[84:85], v[84:85], 2.0, -v[80:81]
	v_fma_f64 v[86:87], v[86:87], 2.0, -v[82:83]
	ds_write_b128 v233, v[84:87] offset:48
	v_add_f64 v[86:87], v[70:71], v[108:109]
	v_fma_f64 v[88:89], s[18:19], v[118:119], v[122:123]
	v_fma_f64 v[90:91], s[18:19], v[102:103], v[124:125]
	;; [unrolled: 1-line block ×6, first 2 shown]
	v_add_f64 v[84:85], v[68:69], -v[116:117]
	v_fmac_f64_e32 v[88:89], s[14:15], v[102:103]
	v_fmac_f64_e32 v[90:91], s[20:21], v[118:119]
	;; [unrolled: 1-line block ×6, first 2 shown]
	v_fma_f64 v[68:69], v[68:69], 2.0, -v[84:85]
	v_fma_f64 v[70:71], v[70:71], 2.0, -v[86:87]
	;; [unrolled: 1-line block ×8, first 2 shown]
	ds_write_b128 v233, v[68:71] offset:64
	ds_write_b128 v233, v[92:95] offset:80
	;; [unrolled: 1-line block ×12, first 2 shown]
	s_waitcnt lgkmcnt(0)
	s_barrier
	ds_read_b128 v[120:123], v232
	ds_read_b128 v[116:119], v232 offset:1280
	ds_read_b128 v[136:139], v232 offset:8192
	;; [unrolled: 1-line block ×14, first 2 shown]
	s_load_dwordx2 s[2:3], s[0:1], 0x38
	v_accvgpr_write_b32 a11, v7
	v_accvgpr_write_b32 a2, v10
	;; [unrolled: 1-line block ×5, first 2 shown]
	v_cmp_gt_u16_e32 vcc, 16, v8
                                        ; implicit-def: $vgpr156_vgpr157
                                        ; implicit-def: $vgpr160_vgpr161
                                        ; implicit-def: $vgpr164_vgpr165
                                        ; implicit-def: $vgpr168_vgpr169
	s_and_saveexec_b64 s[0:1], vcc
	s_cbranch_execz .LBB0_3
; %bb.2:
	ds_read_b128 v[108:111], v232 offset:3840
	ds_read_b128 v[156:159], v232 offset:7936
	;; [unrolled: 1-line block ×5, first 2 shown]
.LBB0_3:
	s_or_b64 exec, exec, s[0:1]
	v_lshlrev_b32_e32 v0, 6, v8
	v_and_b32_e32 v0, 0x3c0, v0
	v_and_b32_e32 v196, 15, v8
	global_load_dwordx4 v[64:67], v0, s[10:11]
	global_load_dwordx4 v[68:71], v0, s[10:11] offset:16
	global_load_dwordx4 v[72:75], v0, s[10:11] offset:32
	;; [unrolled: 1-line block ×6, first 2 shown]
	global_load_dwordx2 v[2:3], v0, s[10:11] offset:56
	v_lshlrev_b32_e32 v0, 6, v196
	global_load_dwordx2 v[240:241], v0, s[10:11]
	s_mov_b32 s0, 0x134454ff
	s_mov_b32 s1, 0x3fee6f0e
	;; [unrolled: 1-line block ×10, first 2 shown]
	v_lshrrev_b32_e32 v0, 4, v8
	v_mul_u32_u24_e32 v0, 0x50, v0
	v_add_u32_e32 v198, 0x50, v8
	v_or_b32_e32 v0, v0, v196
	v_add_u32_e32 v197, 0xa0, v8
	s_waitcnt lgkmcnt(0)
	s_barrier
	s_waitcnt vmcnt(8)
	v_mul_f64 v[200:201], v[150:151], v[66:67]
	v_mul_f64 v[202:203], v[148:149], v[66:67]
	s_waitcnt vmcnt(7)
	v_mul_f64 v[204:205], v[138:139], v[70:71]
	v_mul_f64 v[206:207], v[136:137], v[70:71]
	s_waitcnt vmcnt(6)
	v_mul_f64 v[208:209], v[154:155], v[74:75]
	s_waitcnt vmcnt(5)
	v_mul_f64 v[222:223], v[94:95], v[78:79]
	v_mul_f64 v[224:225], v[102:103], v[66:67]
	v_mul_f64 v[214:215], v[124:125], v[78:79]
	v_mul_f64 v[194:195], v[92:93], v[78:79]
	s_waitcnt vmcnt(0)
	v_fma_f64 v[148:149], v[148:149], v[240:241], -v[200:201]
	v_mul_f64 v[180:181], v[100:101], v[66:67]
	v_fmac_f64_e32 v[202:203], v[150:151], v[240:241]
	v_fma_f64 v[150:151], v[136:137], v[82:83], -v[204:205]
	v_fmac_f64_e32 v[206:207], v[138:139], v[82:83]
	v_fma_f64 v[138:139], v[152:153], v[90:91], -v[208:209]
	v_fma_f64 v[208:209], v[92:93], v[86:87], -v[222:223]
	;; [unrolled: 1-line block ×3, first 2 shown]
	v_add_f64 v[100:101], v[120:121], v[148:149]
	v_mul_f64 v[210:211], v[152:153], v[74:75]
	v_mul_f64 v[212:213], v[126:127], v[78:79]
	;; [unrolled: 1-line block ×4, first 2 shown]
	v_fmac_f64_e32 v[214:215], v[126:127], v[86:87]
	v_fmac_f64_e32 v[180:181], v[102:103], v[240:241]
	v_add_f64 v[102:103], v[150:151], v[138:139]
	v_add_f64 v[100:101], v[100:101], v[150:151]
	v_mul_f64 v[218:219], v[98:99], v[70:71]
	v_mul_f64 v[226:227], v[130:131], v[70:71]
	;; [unrolled: 1-line block ×4, first 2 shown]
	v_fmac_f64_e32 v[210:211], v[154:155], v[90:91]
	v_fma_f64 v[152:153], v[124:125], v[86:87], -v[212:213]
	v_fmac_f64_e32 v[190:191], v[98:99], v[82:83]
	v_fma_f64 v[98:99], v[104:105], v[86:87], -v[230:231]
	v_add_f64 v[104:105], v[202:203], -v[214:215]
	v_fma_f64 v[124:125], -0.5, v[102:103], v[120:121]
	v_add_f64 v[100:101], v[100:101], v[138:139]
	v_mul_f64 v[182:183], v[128:129], v[70:71]
	v_mul_f64 v[184:185], v[132:133], v[74:75]
	v_fma_f64 v[200:201], v[96:97], v[82:83], -v[218:219]
	v_fmac_f64_e32 v[194:195], v[94:95], v[86:87]
	v_fma_f64 v[94:95], v[128:129], v[82:83], -v[226:227]
	v_fma_f64 v[96:97], v[132:133], v[90:91], -v[228:229]
	v_fmac_f64_e32 v[186:187], v[106:107], v[86:87]
	v_add_f64 v[132:133], v[100:101], v[152:153]
	v_fma_f64 v[128:129], s[0:1], v[104:105], v[124:125]
	v_add_f64 v[100:101], v[206:207], -v[210:211]
	v_add_f64 v[102:103], v[148:149], -v[150:151]
	;; [unrolled: 1-line block ×3, first 2 shown]
	v_fmac_f64_e32 v[124:125], s[16:17], v[104:105]
	v_fmac_f64_e32 v[128:129], s[12:13], v[100:101]
	v_add_f64 v[102:103], v[102:103], v[106:107]
	v_fmac_f64_e32 v[124:125], s[18:19], v[100:101]
	v_fmac_f64_e32 v[128:129], s[14:15], v[102:103]
	;; [unrolled: 1-line block ×3, first 2 shown]
	v_add_f64 v[102:103], v[148:149], v[152:153]
	v_fmac_f64_e32 v[120:121], -0.5, v[102:103]
	v_fma_f64 v[136:137], s[16:17], v[100:101], v[120:121]
	v_fmac_f64_e32 v[120:121], s[0:1], v[100:101]
	v_add_f64 v[100:101], v[122:123], v[202:203]
	v_add_f64 v[100:101], v[100:101], v[206:207]
	;; [unrolled: 1-line block ×3, first 2 shown]
	v_fmac_f64_e32 v[184:185], v[134:135], v[90:91]
	v_add_f64 v[102:103], v[150:151], -v[148:149]
	v_add_f64 v[106:107], v[138:139], -v[152:153]
	v_add_f64 v[134:135], v[100:101], v[214:215]
	v_add_f64 v[100:101], v[206:207], v[210:211]
	v_fmac_f64_e32 v[136:137], s[12:13], v[104:105]
	v_add_f64 v[102:103], v[102:103], v[106:107]
	v_fmac_f64_e32 v[120:121], s[18:19], v[104:105]
	v_fma_f64 v[126:127], -0.5, v[100:101], v[122:123]
	v_add_f64 v[100:101], v[148:149], -v[152:153]
	v_fmac_f64_e32 v[182:183], v[130:131], v[82:83]
	v_fmac_f64_e32 v[136:137], s[14:15], v[102:103]
	;; [unrolled: 1-line block ×3, first 2 shown]
	v_fma_f64 v[130:131], s[16:17], v[100:101], v[126:127]
	v_add_f64 v[102:103], v[150:151], -v[138:139]
	v_add_f64 v[104:105], v[202:203], -v[206:207]
	;; [unrolled: 1-line block ×3, first 2 shown]
	v_fmac_f64_e32 v[126:127], s[0:1], v[100:101]
	v_fmac_f64_e32 v[130:131], s[18:19], v[102:103]
	v_add_f64 v[104:105], v[104:105], v[106:107]
	v_fmac_f64_e32 v[126:127], s[12:13], v[102:103]
	v_fmac_f64_e32 v[130:131], s[14:15], v[104:105]
	;; [unrolled: 1-line block ×3, first 2 shown]
	v_add_f64 v[104:105], v[202:203], v[214:215]
	v_mul_f64 v[216:217], v[142:143], v[66:67]
	v_fmac_f64_e32 v[122:123], -0.5, v[104:105]
	v_fma_f64 v[154:155], v[140:141], v[240:241], -v[216:217]
	v_fma_f64 v[138:139], s[0:1], v[102:103], v[122:123]
	v_fmac_f64_e32 v[122:123], s[16:17], v[102:103]
	v_mul_f64 v[220:221], v[146:147], v[74:75]
	v_fmac_f64_e32 v[138:139], s[18:19], v[100:101]
	v_fmac_f64_e32 v[122:123], s[12:13], v[100:101]
	v_add_f64 v[100:101], v[116:117], v[154:155]
	v_fma_f64 v[204:205], v[144:145], v[90:91], -v[220:221]
	v_add_f64 v[100:101], v[100:101], v[200:201]
	v_mul_f64 v[188:189], v[140:141], v[66:67]
	v_add_f64 v[100:101], v[100:101], v[204:205]
	v_mul_f64 v[192:193], v[144:145], v[74:75]
	v_fmac_f64_e32 v[188:189], v[142:143], v[240:241]
	v_add_f64 v[104:105], v[206:207], -v[202:203]
	v_add_f64 v[106:107], v[210:211], -v[214:215]
	v_add_f64 v[144:145], v[100:101], v[208:209]
	v_add_f64 v[100:101], v[200:201], v[204:205]
	v_fmac_f64_e32 v[192:193], v[146:147], v[90:91]
	v_add_f64 v[104:105], v[104:105], v[106:107]
	v_fma_f64 v[140:141], -0.5, v[100:101], v[116:117]
	v_add_f64 v[100:101], v[188:189], -v[194:195]
	v_fmac_f64_e32 v[138:139], s[14:15], v[104:105]
	v_fmac_f64_e32 v[122:123], s[14:15], v[104:105]
	v_fma_f64 v[148:149], s[0:1], v[100:101], v[140:141]
	v_add_f64 v[102:103], v[190:191], -v[192:193]
	v_add_f64 v[104:105], v[154:155], -v[200:201]
	;; [unrolled: 1-line block ×3, first 2 shown]
	v_fmac_f64_e32 v[140:141], s[16:17], v[100:101]
	v_fmac_f64_e32 v[148:149], s[12:13], v[102:103]
	v_add_f64 v[104:105], v[104:105], v[106:107]
	v_fmac_f64_e32 v[140:141], s[18:19], v[102:103]
	v_fmac_f64_e32 v[148:149], s[14:15], v[104:105]
	;; [unrolled: 1-line block ×3, first 2 shown]
	v_add_f64 v[104:105], v[154:155], v[208:209]
	v_fmac_f64_e32 v[116:117], -0.5, v[104:105]
	v_fma_f64 v[152:153], s[16:17], v[102:103], v[116:117]
	v_fmac_f64_e32 v[116:117], s[0:1], v[102:103]
	v_fmac_f64_e32 v[152:153], s[12:13], v[100:101]
	;; [unrolled: 1-line block ×3, first 2 shown]
	v_add_f64 v[100:101], v[118:119], v[188:189]
	v_add_f64 v[100:101], v[100:101], v[190:191]
	;; [unrolled: 1-line block ×3, first 2 shown]
	v_add_f64 v[104:105], v[200:201], -v[154:155]
	v_add_f64 v[106:107], v[204:205], -v[208:209]
	v_add_f64 v[146:147], v[100:101], v[194:195]
	v_add_f64 v[100:101], v[190:191], v[192:193]
	;; [unrolled: 1-line block ×3, first 2 shown]
	v_fma_f64 v[142:143], -0.5, v[100:101], v[118:119]
	v_add_f64 v[100:101], v[154:155], -v[208:209]
	v_fmac_f64_e32 v[152:153], s[14:15], v[104:105]
	v_fmac_f64_e32 v[116:117], s[14:15], v[104:105]
	v_fma_f64 v[150:151], s[16:17], v[100:101], v[142:143]
	v_add_f64 v[102:103], v[200:201], -v[204:205]
	v_add_f64 v[104:105], v[188:189], -v[190:191]
	;; [unrolled: 1-line block ×3, first 2 shown]
	v_fmac_f64_e32 v[142:143], s[0:1], v[100:101]
	v_fmac_f64_e32 v[150:151], s[18:19], v[102:103]
	v_add_f64 v[104:105], v[104:105], v[106:107]
	v_fmac_f64_e32 v[142:143], s[12:13], v[102:103]
	v_fmac_f64_e32 v[150:151], s[14:15], v[104:105]
	;; [unrolled: 1-line block ×3, first 2 shown]
	v_add_f64 v[104:105], v[188:189], v[194:195]
	v_fmac_f64_e32 v[118:119], -0.5, v[104:105]
	v_fma_f64 v[154:155], s[0:1], v[102:103], v[118:119]
	v_fmac_f64_e32 v[118:119], s[16:17], v[102:103]
	v_fmac_f64_e32 v[154:155], s[18:19], v[100:101]
	;; [unrolled: 1-line block ×3, first 2 shown]
	v_add_f64 v[100:101], v[112:113], v[92:93]
	v_add_f64 v[100:101], v[100:101], v[94:95]
	v_mul_f64 v[172:173], v[156:157], v[80:81]
	v_mul_f64 v[244:245], v[162:163], v[88:89]
	;; [unrolled: 1-line block ×3, first 2 shown]
	v_add_f64 v[100:101], v[100:101], v[96:97]
	v_mul_f64 v[242:243], v[158:159], v[80:81]
	v_mul_f64 v[174:175], v[160:161], v[88:89]
	;; [unrolled: 1-line block ×4, first 2 shown]
	v_fmac_f64_e32 v[172:173], v[158:159], v[64:65]
	v_fma_f64 v[158:159], v[160:161], v[68:69], -v[244:245]
	v_fma_f64 v[160:161], v[164:165], v[72:73], -v[246:247]
	v_add_f64 v[104:105], v[190:191], -v[188:189]
	v_add_f64 v[106:107], v[192:193], -v[194:195]
	v_add_f64 v[164:165], v[100:101], v[98:99]
	v_add_f64 v[100:101], v[94:95], v[96:97]
	v_mul_f64 v[178:179], v[168:169], v[2:3]
	v_fmac_f64_e32 v[174:175], v[162:163], v[68:69]
	v_fma_f64 v[162:163], v[168:169], v[76:77], -v[248:249]
	v_add_f64 v[104:105], v[104:105], v[106:107]
	v_fma_f64 v[168:169], -0.5, v[100:101], v[112:113]
	v_add_f64 v[100:101], v[180:181], -v[186:187]
	v_fmac_f64_e32 v[154:155], s[14:15], v[104:105]
	v_fmac_f64_e32 v[118:119], s[14:15], v[104:105]
	v_fma_f64 v[188:189], s[0:1], v[100:101], v[168:169]
	v_add_f64 v[102:103], v[182:183], -v[184:185]
	v_add_f64 v[104:105], v[92:93], -v[94:95]
	;; [unrolled: 1-line block ×3, first 2 shown]
	v_fmac_f64_e32 v[168:169], s[16:17], v[100:101]
	v_fmac_f64_e32 v[188:189], s[12:13], v[102:103]
	v_add_f64 v[104:105], v[104:105], v[106:107]
	v_fmac_f64_e32 v[168:169], s[18:19], v[102:103]
	v_fmac_f64_e32 v[188:189], s[14:15], v[104:105]
	;; [unrolled: 1-line block ×3, first 2 shown]
	v_add_f64 v[104:105], v[92:93], v[98:99]
	v_fmac_f64_e32 v[112:113], -0.5, v[104:105]
	v_fma_f64 v[192:193], s[16:17], v[102:103], v[112:113]
	v_fmac_f64_e32 v[112:113], s[0:1], v[102:103]
	v_fmac_f64_e32 v[192:193], s[12:13], v[100:101]
	;; [unrolled: 1-line block ×3, first 2 shown]
	v_add_f64 v[100:101], v[114:115], v[180:181]
	v_add_f64 v[100:101], v[100:101], v[182:183]
	;; [unrolled: 1-line block ×3, first 2 shown]
	v_fmac_f64_e32 v[176:177], v[166:167], v[72:73]
	v_add_f64 v[166:167], v[100:101], v[186:187]
	v_add_f64 v[100:101], v[182:183], v[184:185]
	v_fmac_f64_e32 v[178:179], v[170:171], v[76:77]
	v_add_f64 v[104:105], v[94:95], -v[92:93]
	v_fma_f64 v[170:171], -0.5, v[100:101], v[114:115]
	v_add_f64 v[92:93], v[92:93], -v[98:99]
	v_add_f64 v[106:107], v[96:97], -v[98:99]
	v_fma_f64 v[190:191], s[16:17], v[92:93], v[170:171]
	v_add_f64 v[94:95], v[94:95], -v[96:97]
	v_add_f64 v[96:97], v[180:181], -v[182:183]
	;; [unrolled: 1-line block ×3, first 2 shown]
	v_fmac_f64_e32 v[170:171], s[0:1], v[92:93]
	v_fmac_f64_e32 v[190:191], s[18:19], v[94:95]
	v_add_f64 v[96:97], v[96:97], v[98:99]
	v_fmac_f64_e32 v[170:171], s[12:13], v[94:95]
	v_fmac_f64_e32 v[190:191], s[14:15], v[96:97]
	;; [unrolled: 1-line block ×3, first 2 shown]
	v_add_f64 v[96:97], v[180:181], v[186:187]
	v_fmac_f64_e32 v[114:115], -0.5, v[96:97]
	v_fma_f64 v[194:195], s[0:1], v[94:95], v[114:115]
	v_add_f64 v[96:97], v[182:183], -v[180:181]
	v_add_f64 v[98:99], v[184:185], -v[186:187]
	v_fmac_f64_e32 v[114:115], s[16:17], v[94:95]
	v_fmac_f64_e32 v[194:195], s[18:19], v[92:93]
	v_add_f64 v[96:97], v[96:97], v[98:99]
	v_fmac_f64_e32 v[114:115], s[12:13], v[92:93]
	v_add_f64 v[92:93], v[158:159], v[160:161]
	v_fma_f64 v[156:157], v[156:157], v[64:65], -v[242:243]
	v_fmac_f64_e32 v[194:195], s[14:15], v[96:97]
	v_fmac_f64_e32 v[114:115], s[14:15], v[96:97]
	v_fma_f64 v[96:97], -0.5, v[92:93], v[108:109]
	v_add_f64 v[94:95], v[172:173], -v[178:179]
	v_fma_f64 v[92:93], s[0:1], v[94:95], v[96:97]
	v_add_f64 v[98:99], v[174:175], -v[176:177]
	v_add_f64 v[100:101], v[156:157], -v[158:159]
	;; [unrolled: 1-line block ×3, first 2 shown]
	v_fmac_f64_e32 v[96:97], s[16:17], v[94:95]
	v_fmac_f64_e32 v[92:93], s[12:13], v[98:99]
	v_add_f64 v[100:101], v[100:101], v[102:103]
	v_fmac_f64_e32 v[96:97], s[18:19], v[98:99]
	v_add_f64 v[104:105], v[104:105], v[106:107]
	v_fmac_f64_e32 v[92:93], s[14:15], v[100:101]
	v_fmac_f64_e32 v[96:97], s[14:15], v[100:101]
	v_add_f64 v[100:101], v[156:157], v[162:163]
	v_fmac_f64_e32 v[192:193], s[14:15], v[104:105]
	v_fmac_f64_e32 v[112:113], s[14:15], v[104:105]
	v_fma_f64 v[104:105], -0.5, v[100:101], v[108:109]
	v_fma_f64 v[100:101], s[16:17], v[98:99], v[104:105]
	v_fmac_f64_e32 v[104:105], s[0:1], v[98:99]
	v_fmac_f64_e32 v[100:101], s[12:13], v[94:95]
	v_add_f64 v[102:103], v[158:159], -v[156:157]
	v_add_f64 v[106:107], v[160:161], -v[162:163]
	v_fmac_f64_e32 v[104:105], s[18:19], v[94:95]
	v_add_f64 v[94:95], v[174:175], v[176:177]
	v_add_f64 v[102:103], v[102:103], v[106:107]
	v_fma_f64 v[98:99], -0.5, v[94:95], v[110:111]
	v_add_f64 v[180:181], v[156:157], -v[162:163]
	v_fmac_f64_e32 v[100:101], s[14:15], v[102:103]
	v_fmac_f64_e32 v[104:105], s[14:15], v[102:103]
	v_fma_f64 v[94:95], s[16:17], v[180:181], v[98:99]
	v_add_f64 v[182:183], v[158:159], -v[160:161]
	v_add_f64 v[102:103], v[172:173], -v[174:175]
	;; [unrolled: 1-line block ×3, first 2 shown]
	v_fmac_f64_e32 v[98:99], s[0:1], v[180:181]
	v_lshlrev_b32_e32 v244, 4, v0
	v_lshrrev_b32_e32 v0, 4, v198
	v_fmac_f64_e32 v[94:95], s[18:19], v[182:183]
	v_add_f64 v[102:103], v[102:103], v[106:107]
	v_fmac_f64_e32 v[98:99], s[12:13], v[182:183]
	v_mul_u32_u24_e32 v0, 0x50, v0
	v_fmac_f64_e32 v[94:95], s[14:15], v[102:103]
	v_fmac_f64_e32 v[98:99], s[14:15], v[102:103]
	v_add_f64 v[102:103], v[172:173], v[178:179]
	v_or_b32_e32 v0, v0, v196
	v_fma_f64 v[106:107], -0.5, v[102:103], v[110:111]
	v_lshlrev_b32_e32 v245, 4, v0
	v_lshrrev_b32_e32 v0, 4, v197
	v_fma_f64 v[102:103], s[0:1], v[182:183], v[106:107]
	v_add_f64 v[184:185], v[174:175], -v[172:173]
	v_add_f64 v[186:187], v[176:177], -v[178:179]
	v_fmac_f64_e32 v[106:107], s[16:17], v[182:183]
	v_mul_u32_u24_e32 v0, 0x50, v0
	v_accvgpr_write_b32 a17, v3
	v_fmac_f64_e32 v[102:103], s[18:19], v[180:181]
	v_add_f64 v[184:185], v[184:185], v[186:187]
	v_fmac_f64_e32 v[106:107], s[12:13], v[180:181]
	v_or_b32_e32 v0, v0, v196
	v_accvgpr_write_b32 a16, v2
	v_fmac_f64_e32 v[102:103], s[14:15], v[184:185]
	v_fmac_f64_e32 v[106:107], s[14:15], v[184:185]
	v_lshlrev_b32_e32 v246, 4, v0
	ds_write_b128 v244, v[132:135]
	ds_write_b128 v244, v[128:131] offset:256
	ds_write_b128 v244, v[136:139] offset:512
	ds_write_b128 v244, v[120:123] offset:768
	ds_write_b128 v244, v[124:127] offset:1024
	ds_write_b128 v245, v[144:147]
	ds_write_b128 v245, v[148:151] offset:256
	ds_write_b128 v245, v[152:155] offset:512
	ds_write_b128 v245, v[116:119] offset:768
	ds_write_b128 v245, v[140:143] offset:1024
	;; [unrolled: 5-line block ×3, first 2 shown]
	s_and_saveexec_b64 s[0:1], vcc
	s_cbranch_execz .LBB0_5
; %bb.4:
	v_add_f64 v[110:111], v[110:111], v[172:173]
	v_add_f64 v[108:109], v[108:109], v[156:157]
	;; [unrolled: 1-line block ×8, first 2 shown]
	ds_write_b128 v232, v[108:111] offset:19200
	ds_write_b128 v232, v[92:95] offset:19456
	;; [unrolled: 1-line block ×5, first 2 shown]
.LBB0_5:
	s_or_b64 exec, exec, s[0:1]
	s_movk_i32 s0, 0xf0
	v_mov_b64_e32 v[108:109], s[10:11]
	v_mad_u64_u32 v[220:221], s[0:1], v8, s0, v[108:109]
	s_waitcnt lgkmcnt(0)
	s_barrier
	ds_read_b128 v[168:171], v232
	ds_read_b128 v[120:123], v232 offset:1280
	ds_read_b128 v[124:127], v232 offset:2560
	;; [unrolled: 1-line block ×15, first 2 shown]
	global_load_dwordx4 v[108:111], v[220:221], off offset:1072
	global_load_dwordx4 v[112:115], v[220:221], off offset:1056
	;; [unrolled: 1-line block ×4, first 2 shown]
	s_add_u32 s20, s8, 0x5000
	s_addc_u32 s21, s9, 0
	s_mov_b32 s8, 0x667f3bcd
	s_mov_b32 s9, 0xbfe6a09e
	;; [unrolled: 1-line block ×12, first 2 shown]
	s_movk_i32 s0, 0x1000
	v_accvgpr_write_b32 a0, v8
	s_waitcnt vmcnt(3) lgkmcnt(11)
	v_mul_f64 v[202:203], v[148:149], v[110:111]
	s_waitcnt vmcnt(2)
	v_mul_f64 v[194:195], v[128:129], v[114:115]
	s_waitcnt vmcnt(1)
	;; [unrolled: 2-line block ×3, first 2 shown]
	v_mul_f64 v[188:189], v[122:123], v[134:135]
	v_fma_f64 v[188:189], v[120:121], v[132:133], -v[188:189]
	v_mul_f64 v[190:191], v[120:121], v[134:135]
	v_mul_f64 v[120:121], v[126:127], v[118:119]
	v_fma_f64 v[196:197], v[124:125], v[116:117], -v[120:121]
	v_mul_f64 v[120:121], v[130:131], v[114:115]
	v_fma_f64 v[192:193], v[128:129], v[112:113], -v[120:121]
	v_mul_f64 v[120:121], v[150:151], v[110:111]
	v_fmac_f64_e32 v[190:191], v[122:123], v[132:133]
	v_fmac_f64_e32 v[198:199], v[126:127], v[116:117]
	;; [unrolled: 1-line block ×3, first 2 shown]
	v_fma_f64 v[200:201], v[148:149], v[108:109], -v[120:121]
	v_fmac_f64_e32 v[202:203], v[150:151], v[108:109]
	global_load_dwordx4 v[120:123], v[220:221], off offset:1136
	global_load_dwordx4 v[124:127], v[220:221], off offset:1120
	;; [unrolled: 1-line block ×4, first 2 shown]
	s_waitcnt vmcnt(3) lgkmcnt(7)
	v_mul_f64 v[218:219], v[136:137], v[122:123]
	s_waitcnt vmcnt(2)
	v_mul_f64 v[210:211], v[140:141], v[126:127]
	s_waitcnt vmcnt(1)
	v_mul_f64 v[214:215], v[144:145], v[130:131]
	s_waitcnt vmcnt(0)
	v_mul_f64 v[204:205], v[162:163], v[150:151]
	v_fma_f64 v[204:205], v[160:161], v[148:149], -v[204:205]
	v_mul_f64 v[206:207], v[160:161], v[150:151]
	v_mul_f64 v[160:161], v[146:147], v[130:131]
	v_fma_f64 v[212:213], v[144:145], v[128:129], -v[160:161]
	v_mul_f64 v[144:145], v[142:143], v[126:127]
	v_fma_f64 v[208:209], v[140:141], v[124:125], -v[144:145]
	v_mul_f64 v[140:141], v[138:139], v[122:123]
	v_fmac_f64_e32 v[206:207], v[162:163], v[148:149]
	v_fmac_f64_e32 v[214:215], v[146:147], v[128:129]
	;; [unrolled: 1-line block ×3, first 2 shown]
	v_fma_f64 v[216:217], v[136:137], v[120:121], -v[140:141]
	v_fmac_f64_e32 v[218:219], v[138:139], v[120:121]
	global_load_dwordx4 v[136:139], v[220:221], off offset:1200
	global_load_dwordx4 v[140:143], v[220:221], off offset:1184
	;; [unrolled: 1-line block ×4, first 2 shown]
	s_waitcnt vmcnt(3) lgkmcnt(3)
	v_mul_f64 v[242:243], v[152:153], v[138:139]
	s_waitcnt vmcnt(2)
	v_mul_f64 v[224:225], v[156:157], v[142:143]
	s_waitcnt vmcnt(1)
	;; [unrolled: 2-line block ×3, first 2 shown]
	v_mul_f64 v[222:223], v[186:187], v[162:163]
	v_fma_f64 v[222:223], v[184:185], v[160:161], -v[222:223]
	v_mul_f64 v[184:185], v[184:185], v[162:163]
	v_fmac_f64_e32 v[184:185], v[186:187], v[160:161]
	v_mul_f64 v[186:187], v[166:167], v[146:147]
	v_fma_f64 v[226:227], v[164:165], v[144:145], -v[186:187]
	v_mul_f64 v[164:165], v[158:159], v[142:143]
	v_fma_f64 v[186:187], v[156:157], v[140:141], -v[164:165]
	v_mul_f64 v[156:157], v[154:155], v[138:139]
	v_fmac_f64_e32 v[228:229], v[166:167], v[144:145]
	v_fmac_f64_e32 v[224:225], v[158:159], v[140:141]
	v_fma_f64 v[230:231], v[152:153], v[136:137], -v[156:157]
	v_fmac_f64_e32 v[242:243], v[154:155], v[136:137]
	global_load_dwordx4 v[152:155], v[220:221], off offset:1248
	global_load_dwordx4 v[156:159], v[220:221], off offset:1232
	;; [unrolled: 1-line block ×3, first 2 shown]
	v_add_f64 v[228:229], v[198:199], -v[228:229]
	v_add_f64 v[184:185], v[190:191], -v[184:185]
	;; [unrolled: 1-line block ×6, first 2 shown]
	v_fma_f64 v[198:199], v[198:199], 2.0, -v[228:229]
	v_fma_f64 v[190:191], v[190:191], 2.0, -v[184:185]
	v_fma_f64 v[194:195], v[194:195], 2.0, -v[224:225]
	v_fma_f64 v[196:197], v[196:197], 2.0, -v[226:227]
	v_fma_f64 v[188:189], v[188:189], 2.0, -v[222:223]
	v_fma_f64 v[192:193], v[192:193], 2.0, -v[186:187]
	s_waitcnt vmcnt(0) lgkmcnt(2)
	v_mul_f64 v[220:221], v[182:183], v[166:167]
	v_fma_f64 v[220:221], v[180:181], v[164:165], -v[220:221]
	v_mul_f64 v[180:181], v[180:181], v[166:167]
	v_fmac_f64_e32 v[180:181], v[182:183], v[164:165]
	s_waitcnt lgkmcnt(1)
	v_mul_f64 v[182:183], v[178:179], v[158:159]
	v_fma_f64 v[182:183], v[176:177], v[156:157], -v[182:183]
	v_mul_f64 v[176:177], v[176:177], v[158:159]
	v_fmac_f64_e32 v[176:177], v[178:179], v[156:157]
	s_waitcnt lgkmcnt(0)
	v_mul_f64 v[178:179], v[174:175], v[154:155]
	v_fma_f64 v[178:179], v[172:173], v[152:153], -v[178:179]
	v_mul_f64 v[172:173], v[172:173], v[154:155]
	v_fmac_f64_e32 v[172:173], v[174:175], v[152:153]
	v_add_f64 v[174:175], v[168:169], -v[216:217]
	v_add_f64 v[216:217], v[170:171], -v[218:219]
	v_add_f64 v[218:219], v[200:201], -v[230:231]
	v_add_f64 v[182:183], v[212:213], -v[182:183]
	v_add_f64 v[220:221], v[204:205], -v[220:221]
	v_add_f64 v[178:179], v[208:209], -v[178:179]
	v_add_f64 v[230:231], v[202:203], -v[242:243]
	v_fma_f64 v[200:201], v[200:201], 2.0, -v[218:219]
	v_add_f64 v[176:177], v[214:215], -v[176:177]
	v_fma_f64 v[212:213], v[212:213], 2.0, -v[182:183]
	v_add_f64 v[180:181], v[206:207], -v[180:181]
	;; [unrolled: 2-line block ×3, first 2 shown]
	v_fma_f64 v[208:209], v[208:209], 2.0, -v[178:179]
	v_add_f64 v[218:219], v[216:217], v[218:219]
	v_add_f64 v[182:183], v[228:229], v[182:183]
	;; [unrolled: 1-line block ×4, first 2 shown]
	v_fma_f64 v[170:171], v[170:171], 2.0, -v[216:217]
	v_fma_f64 v[202:203], v[202:203], 2.0, -v[230:231]
	;; [unrolled: 1-line block ×5, first 2 shown]
	v_add_f64 v[230:231], v[174:175], -v[230:231]
	v_fma_f64 v[216:217], v[216:217], 2.0, -v[218:219]
	v_add_f64 v[176:177], v[226:227], -v[176:177]
	v_fma_f64 v[228:229], v[228:229], 2.0, -v[182:183]
	v_add_f64 v[180:181], v[222:223], -v[180:181]
	v_fma_f64 v[184:185], v[184:185], 2.0, -v[220:221]
	v_add_f64 v[172:173], v[186:187], -v[172:173]
	v_fma_f64 v[224:225], v[224:225], 2.0, -v[178:179]
	v_fma_f64 v[168:169], v[168:169], 2.0, -v[174:175]
	v_add_f64 v[202:203], v[170:171], -v[202:203]
	v_fma_f64 v[174:175], v[174:175], 2.0, -v[230:231]
	v_add_f64 v[214:215], v[198:199], -v[214:215]
	;; [unrolled: 2-line block ×4, first 2 shown]
	v_fma_f64 v[186:187], v[186:187], 2.0, -v[172:173]
	v_fma_f64 v[252:253], s[8:9], v[228:229], v[216:217]
	v_fma_f64 v[238:239], s[10:11], v[176:177], v[230:231]
	;; [unrolled: 1-line block ×3, first 2 shown]
	v_add_f64 v[200:201], v[168:169], -v[200:201]
	v_fma_f64 v[170:171], v[170:171], 2.0, -v[202:203]
	v_add_f64 v[212:213], v[196:197], -v[212:213]
	v_fma_f64 v[198:199], v[198:199], 2.0, -v[214:215]
	;; [unrolled: 2-line block ×4, first 2 shown]
	v_fma_f64 v[250:251], s[8:9], v[226:227], v[174:175]
	v_fmac_f64_e32 v[252:253], s[10:11], v[226:227]
	v_fma_f64 v[236:237], s[10:11], v[182:183], v[218:219]
	v_fmac_f64_e32 v[238:239], s[8:9], v[182:183]
	;; [unrolled: 2-line block ×3, first 2 shown]
	v_fma_f64 v[168:169], v[168:169], 2.0, -v[200:201]
	v_fma_f64 v[196:197], v[196:197], 2.0, -v[212:213]
	;; [unrolled: 1-line block ×4, first 2 shown]
	v_add_f64 v[248:249], v[170:171], -v[198:199]
	v_fmac_f64_e32 v[250:251], s[8:9], v[228:229]
	v_fma_f64 v[216:217], v[216:217], 2.0, -v[252:253]
	v_add_f64 v[254:255], v[202:203], v[212:213]
	v_fmac_f64_e32 v[236:237], s[10:11], v[176:177]
	v_fma_f64 v[212:213], v[230:231], 2.0, -v[238:239]
	v_add_f64 v[230:231], v[190:191], -v[194:195]
	v_fmac_f64_e32 v[234:235], s[8:9], v[224:225]
	v_fma_f64 v[182:183], v[184:185], 2.0, -v[0:1]
	v_add_f64 v[224:225], v[206:207], v[208:209]
	v_fma_f64 v[4:5], s[10:11], v[172:173], v[180:181]
	v_add_f64 v[242:243], v[168:169], -v[196:197]
	v_fma_f64 v[198:199], v[170:171], 2.0, -v[248:249]
	v_fma_f64 v[226:227], v[174:175], 2.0, -v[250:251]
	v_add_f64 v[228:229], v[200:201], -v[214:215]
	v_fma_f64 v[202:203], v[202:203], 2.0, -v[254:255]
	v_fma_f64 v[214:215], v[218:219], 2.0, -v[236:237]
	;; [unrolled: 3-line block ×3, first 2 shown]
	v_add_f64 v[222:223], v[204:205], -v[210:211]
	v_fma_f64 v[190:191], v[206:207], 2.0, -v[224:225]
	v_fma_f64 v[6:7], s[10:11], v[178:179], v[220:221]
	v_fmac_f64_e32 v[4:5], s[8:9], v[178:179]
	v_fma_f64 v[178:179], s[16:17], v[182:183], v[216:217]
	v_fma_f64 v[196:197], v[168:169], 2.0, -v[242:243]
	v_fma_f64 v[200:201], v[200:201], 2.0, -v[228:229]
	;; [unrolled: 1-line block ×4, first 2 shown]
	v_fmac_f64_e32 v[6:7], s[10:11], v[172:173]
	v_fma_f64 v[176:177], s[16:17], v[2:3], v[226:227]
	v_fmac_f64_e32 v[178:179], s[14:15], v[2:3]
	v_fma_f64 v[186:187], s[8:9], v[190:191], v[202:203]
	v_fma_f64 v[204:205], v[180:181], 2.0, -v[4:5]
	v_fma_f64 v[206:207], v[220:221], 2.0, -v[6:7]
	v_fmac_f64_e32 v[176:177], s[12:13], v[182:183]
	v_fma_f64 v[182:183], v[216:217], 2.0, -v[178:179]
	v_fma_f64 v[184:185], s[8:9], v[188:189], v[200:201]
	v_fmac_f64_e32 v[186:187], s[10:11], v[188:189]
	v_fma_f64 v[216:217], s[10:11], v[222:223], v[228:229]
	v_add_f64 v[168:169], v[196:197], -v[168:169]
	v_add_f64 v[170:171], v[198:199], -v[170:171]
	v_fma_f64 v[180:181], v[226:227], 2.0, -v[176:177]
	v_fmac_f64_e32 v[184:185], s[8:9], v[190:191]
	v_fma_f64 v[190:191], v[202:203], 2.0, -v[186:187]
	v_fma_f64 v[192:193], s[12:13], v[204:205], v[212:213]
	v_fma_f64 v[194:195], s[12:13], v[206:207], v[214:215]
	v_add_f64 v[202:203], v[248:249], v[218:219]
	v_fma_f64 v[208:209], s[14:15], v[234:235], v[250:251]
	v_fma_f64 v[210:211], s[14:15], v[0:1], v[252:253]
	;; [unrolled: 1-line block ×3, first 2 shown]
	v_fmac_f64_e32 v[216:217], s[8:9], v[224:225]
	v_fma_f64 v[224:225], s[18:19], v[4:5], v[238:239]
	v_fma_f64 v[226:227], s[18:19], v[6:7], v[236:237]
	v_fma_f64 v[172:173], v[196:197], 2.0, -v[168:169]
	v_fma_f64 v[174:175], v[198:199], 2.0, -v[170:171]
	;; [unrolled: 1-line block ×3, first 2 shown]
	v_fmac_f64_e32 v[192:193], s[16:17], v[206:207]
	v_fmac_f64_e32 v[194:195], s[18:19], v[204:205]
	v_add_f64 v[200:201], v[242:243], -v[230:231]
	v_fmac_f64_e32 v[208:209], s[16:17], v[0:1]
	v_fmac_f64_e32 v[210:211], s[18:19], v[234:235]
	;; [unrolled: 1-line block ×5, first 2 shown]
	v_lshlrev_b32_e32 v0, 4, v8
	v_fma_f64 v[196:197], v[212:213], 2.0, -v[192:193]
	v_fma_f64 v[198:199], v[214:215], 2.0, -v[194:195]
	;; [unrolled: 1-line block ×10, first 2 shown]
	ds_write_b128 v232, v[172:175]
	ds_write_b128 v232, v[180:183] offset:1280
	ds_write_b128 v232, v[188:191] offset:2560
	ds_write_b128 v232, v[196:199] offset:3840
	ds_write_b128 v232, v[204:207] offset:5120
	ds_write_b128 v232, v[212:215] offset:6400
	ds_write_b128 v232, v[220:223] offset:7680
	ds_write_b128 v232, v[228:231] offset:8960
	ds_write_b128 v232, v[168:171] offset:10240
	ds_write_b128 v232, v[176:179] offset:11520
	ds_write_b128 v232, v[184:187] offset:12800
	ds_write_b128 v232, v[192:195] offset:14080
	ds_write_b128 v232, v[200:203] offset:15360
	ds_write_b128 v232, v[208:211] offset:16640
	ds_write_b128 v232, v[216:219] offset:17920
	ds_write_b128 v232, v[224:227] offset:19200
	s_waitcnt lgkmcnt(0)
	s_barrier
	global_load_dwordx4 v[174:177], v0, s[20:21]
	ds_read_b128 v[170:173], v232
	v_mov_b32_e32 v1, 0
	v_lshl_add_u64 v[168:169], s[20:21], 0, v[0:1]
	s_waitcnt vmcnt(0) lgkmcnt(0)
	v_mul_f64 v[2:3], v[172:173], v[176:177]
	v_mul_f64 v[180:181], v[170:171], v[176:177]
	v_fma_f64 v[178:179], v[170:171], v[174:175], -v[2:3]
	v_fmac_f64_e32 v[180:181], v[172:173], v[174:175]
	global_load_dwordx4 v[174:177], v0, s[20:21] offset:1280
	ds_read_b128 v[170:173], v232 offset:1280
	ds_write_b128 v232, v[178:181]
	s_waitcnt vmcnt(0) lgkmcnt(1)
	v_mul_f64 v[2:3], v[172:173], v[176:177]
	v_mul_f64 v[180:181], v[170:171], v[176:177]
	v_fma_f64 v[178:179], v[170:171], v[174:175], -v[2:3]
	v_fmac_f64_e32 v[180:181], v[172:173], v[174:175]
	global_load_dwordx4 v[174:177], v0, s[20:21] offset:2560
	ds_read_b128 v[170:173], v232 offset:2560
	ds_write_b128 v232, v[178:181] offset:1280
	s_waitcnt vmcnt(0) lgkmcnt(1)
	v_mul_f64 v[2:3], v[172:173], v[176:177]
	v_mul_f64 v[180:181], v[170:171], v[176:177]
	v_fma_f64 v[178:179], v[170:171], v[174:175], -v[2:3]
	v_fmac_f64_e32 v[180:181], v[172:173], v[174:175]
	global_load_dwordx4 v[174:177], v0, s[20:21] offset:3840
	ds_read_b128 v[170:173], v232 offset:3840
	ds_write_b128 v232, v[178:181] offset:2560
	s_waitcnt vmcnt(0) lgkmcnt(1)
	v_mul_f64 v[0:1], v[172:173], v[176:177]
	v_fma_f64 v[178:179], v[170:171], v[174:175], -v[0:1]
	v_add_co_u32_e64 v0, s[0:1], s0, v168
	v_mul_f64 v[180:181], v[170:171], v[176:177]
	s_nop 0
	v_addc_co_u32_e64 v1, s[0:1], 0, v169, s[0:1]
	v_fmac_f64_e32 v[180:181], v[172:173], v[174:175]
	global_load_dwordx4 v[174:177], v[0:1], off offset:1024
	ds_read_b128 v[170:173], v232 offset:5120
	ds_write_b128 v232, v[178:181] offset:3840
	s_movk_i32 s0, 0x2000
	s_waitcnt vmcnt(0) lgkmcnt(1)
	v_mul_f64 v[2:3], v[172:173], v[176:177]
	v_mul_f64 v[180:181], v[170:171], v[176:177]
	v_fma_f64 v[178:179], v[170:171], v[174:175], -v[2:3]
	v_fmac_f64_e32 v[180:181], v[172:173], v[174:175]
	global_load_dwordx4 v[174:177], v[0:1], off offset:2304
	ds_read_b128 v[170:173], v232 offset:6400
	ds_write_b128 v232, v[178:181] offset:5120
	s_waitcnt vmcnt(0) lgkmcnt(1)
	v_mul_f64 v[2:3], v[172:173], v[176:177]
	v_mul_f64 v[180:181], v[170:171], v[176:177]
	v_fma_f64 v[178:179], v[170:171], v[174:175], -v[2:3]
	v_fmac_f64_e32 v[180:181], v[172:173], v[174:175]
	global_load_dwordx4 v[174:177], v[0:1], off offset:3584
	ds_read_b128 v[170:173], v232 offset:7680
	ds_write_b128 v232, v[178:181] offset:6400
	s_waitcnt vmcnt(0) lgkmcnt(1)
	v_mul_f64 v[0:1], v[172:173], v[176:177]
	v_fma_f64 v[178:179], v[170:171], v[174:175], -v[0:1]
	v_add_co_u32_e64 v0, s[0:1], s0, v168
	v_mul_f64 v[180:181], v[170:171], v[176:177]
	s_nop 0
	v_addc_co_u32_e64 v1, s[0:1], 0, v169, s[0:1]
	v_fmac_f64_e32 v[180:181], v[172:173], v[174:175]
	global_load_dwordx4 v[174:177], v[0:1], off offset:768
	ds_read_b128 v[170:173], v232 offset:8960
	ds_write_b128 v232, v[178:181] offset:7680
	s_movk_i32 s0, 0x3000
	s_waitcnt vmcnt(0) lgkmcnt(1)
	v_mul_f64 v[2:3], v[172:173], v[176:177]
	v_mul_f64 v[180:181], v[170:171], v[176:177]
	v_fma_f64 v[178:179], v[170:171], v[174:175], -v[2:3]
	v_fmac_f64_e32 v[180:181], v[172:173], v[174:175]
	global_load_dwordx4 v[174:177], v9, s[20:21]
	ds_read_b128 v[170:173], v232 offset:10240
	ds_write_b128 v232, v[178:181] offset:8960
	s_waitcnt vmcnt(0) lgkmcnt(1)
	v_mul_f64 v[2:3], v[172:173], v[176:177]
	v_mul_f64 v[180:181], v[170:171], v[176:177]
	v_fma_f64 v[178:179], v[170:171], v[174:175], -v[2:3]
	v_fmac_f64_e32 v[180:181], v[172:173], v[174:175]
	global_load_dwordx4 v[174:177], v[0:1], off offset:3328
	ds_read_b128 v[170:173], v232 offset:11520
	ds_write_b128 v232, v[178:181] offset:10240
	s_waitcnt vmcnt(0) lgkmcnt(1)
	v_mul_f64 v[0:1], v[172:173], v[176:177]
	v_fma_f64 v[178:179], v[170:171], v[174:175], -v[0:1]
	v_add_co_u32_e64 v0, s[0:1], s0, v168
	v_mul_f64 v[180:181], v[170:171], v[176:177]
	s_nop 0
	v_addc_co_u32_e64 v1, s[0:1], 0, v169, s[0:1]
	v_fmac_f64_e32 v[180:181], v[172:173], v[174:175]
	global_load_dwordx4 v[174:177], v[0:1], off offset:512
	ds_read_b128 v[170:173], v232 offset:12800
	ds_write_b128 v232, v[178:181] offset:11520
	s_movk_i32 s0, 0x4000
	s_waitcnt vmcnt(0) lgkmcnt(1)
	v_mul_f64 v[2:3], v[172:173], v[176:177]
	v_mul_f64 v[180:181], v[170:171], v[176:177]
	v_fma_f64 v[178:179], v[170:171], v[174:175], -v[2:3]
	v_fmac_f64_e32 v[180:181], v[172:173], v[174:175]
	global_load_dwordx4 v[174:177], v[0:1], off offset:1792
	ds_read_b128 v[170:173], v232 offset:14080
	ds_write_b128 v232, v[178:181] offset:12800
	s_waitcnt vmcnt(0) lgkmcnt(1)
	v_mul_f64 v[2:3], v[172:173], v[176:177]
	v_mul_f64 v[180:181], v[170:171], v[176:177]
	v_fma_f64 v[178:179], v[170:171], v[174:175], -v[2:3]
	v_fmac_f64_e32 v[180:181], v[172:173], v[174:175]
	global_load_dwordx4 v[174:177], v[0:1], off offset:3072
	ds_read_b128 v[170:173], v232 offset:15360
	ds_write_b128 v232, v[178:181] offset:14080
	s_waitcnt vmcnt(0) lgkmcnt(1)
	v_mul_f64 v[0:1], v[172:173], v[176:177]
	v_fma_f64 v[178:179], v[170:171], v[174:175], -v[0:1]
	v_add_co_u32_e64 v0, s[0:1], s0, v168
	v_mul_f64 v[180:181], v[170:171], v[176:177]
	s_nop 0
	v_addc_co_u32_e64 v1, s[0:1], 0, v169, s[0:1]
	v_fmac_f64_e32 v[180:181], v[172:173], v[174:175]
	global_load_dwordx4 v[174:177], v[0:1], off offset:256
	ds_read_b128 v[170:173], v232 offset:16640
	ds_write_b128 v232, v[178:181] offset:15360
	s_waitcnt vmcnt(0) lgkmcnt(1)
	v_mul_f64 v[2:3], v[172:173], v[176:177]
	v_fma_f64 v[168:169], v[170:171], v[174:175], -v[2:3]
	v_mul_f64 v[170:171], v[170:171], v[176:177]
	v_fmac_f64_e32 v[170:171], v[172:173], v[174:175]
	global_load_dwordx4 v[172:175], v[0:1], off offset:1536
	ds_write_b128 v232, v[168:171] offset:16640
	ds_read_b128 v[168:171], v232 offset:17920
	s_waitcnt vmcnt(0) lgkmcnt(0)
	v_mul_f64 v[2:3], v[170:171], v[174:175]
	v_mul_f64 v[178:179], v[168:169], v[174:175]
	v_fma_f64 v[176:177], v[168:169], v[172:173], -v[2:3]
	v_fmac_f64_e32 v[178:179], v[170:171], v[172:173]
	global_load_dwordx4 v[172:175], v[0:1], off offset:2816
	ds_read_b128 v[168:171], v232 offset:19200
	ds_write_b128 v232, v[176:179] offset:17920
	s_waitcnt vmcnt(0) lgkmcnt(1)
	v_mul_f64 v[0:1], v[170:171], v[174:175]
	v_mul_f64 v[178:179], v[168:169], v[174:175]
	v_fma_f64 v[176:177], v[168:169], v[172:173], -v[0:1]
	v_fmac_f64_e32 v[178:179], v[170:171], v[172:173]
	ds_write_b128 v232, v[176:179] offset:19200
	s_waitcnt lgkmcnt(0)
	s_barrier
	ds_read_b128 v[168:171], v232
	ds_read_b128 v[172:175], v232 offset:1280
	ds_read_b128 v[176:179], v232 offset:2560
	;; [unrolled: 1-line block ×15, first 2 shown]
	s_waitcnt lgkmcnt(7)
	v_add_f64 v[0:1], v[168:169], -v[200:201]
	v_add_f64 v[2:3], v[170:171], -v[202:203]
	v_fma_f64 v[4:5], v[168:169], 2.0, -v[0:1]
	v_fma_f64 v[6:7], v[170:171], 2.0, -v[2:3]
	s_waitcnt lgkmcnt(3)
	v_add_f64 v[168:169], v[184:185], -v[216:217]
	v_add_f64 v[170:171], v[186:187], -v[218:219]
	;; [unrolled: 1-line block ×4, first 2 shown]
	s_waitcnt lgkmcnt(1)
	v_add_f64 v[208:209], v[192:193], -v[224:225]
	v_add_f64 v[210:211], v[194:195], -v[226:227]
	;; [unrolled: 1-line block ×8, first 2 shown]
	s_waitcnt lgkmcnt(0)
	v_add_f64 v[220:221], v[196:197], -v[228:229]
	v_add_f64 v[222:223], v[198:199], -v[230:231]
	v_fma_f64 v[184:185], v[184:185], 2.0, -v[168:169]
	v_fma_f64 v[186:187], v[186:187], 2.0, -v[170:171]
	;; [unrolled: 1-line block ×14, first 2 shown]
	v_add_f64 v[184:185], v[4:5], -v[184:185]
	v_add_f64 v[186:187], v[6:7], -v[186:187]
	v_add_f64 v[170:171], v[0:1], v[170:171]
	v_add_f64 v[168:169], v[2:3], -v[168:169]
	v_add_f64 v[192:193], v[176:177], -v[192:193]
	v_add_f64 v[194:195], v[178:179], -v[194:195]
	v_add_f64 v[210:211], v[200:201], v[210:211]
	v_add_f64 v[208:209], v[202:203], -v[208:209]
	;; [unrolled: 4-line block ×4, first 2 shown]
	v_fma_f64 v[0:1], v[0:1], 2.0, -v[170:171]
	v_fma_f64 v[2:3], v[2:3], 2.0, -v[168:169]
	;; [unrolled: 1-line block ×4, first 2 shown]
	v_add_f64 v[234:235], v[184:185], v[194:195]
	v_add_f64 v[236:237], v[186:187], -v[192:193]
	v_fma_f64 v[238:239], s[10:11], v[210:211], v[170:171]
	v_fma_f64 v[242:243], s[10:11], v[208:209], v[168:169]
	v_add_f64 v[252:253], v[188:189], v[198:199]
	v_add_f64 v[254:255], v[190:191], -v[196:197]
	v_fma_f64 v[8:9], s[10:11], v[222:223], v[218:219]
	v_fma_f64 v[10:11], s[10:11], v[220:221], v[216:217]
	v_fma_f64 v[176:177], v[176:177], 2.0, -v[192:193]
	v_fma_f64 v[178:179], v[178:179], 2.0, -v[194:195]
	;; [unrolled: 1-line block ×8, first 2 shown]
	v_fma_f64 v[228:229], s[8:9], v[200:201], v[0:1]
	v_fma_f64 v[230:231], s[8:9], v[202:203], v[2:3]
	v_fma_f64 v[192:193], v[184:185], 2.0, -v[234:235]
	v_fma_f64 v[194:195], v[186:187], 2.0, -v[236:237]
	v_fmac_f64_e32 v[238:239], s[10:11], v[208:209]
	v_fmac_f64_e32 v[242:243], s[8:9], v[210:211]
	v_fma_f64 v[196:197], v[188:189], 2.0, -v[252:253]
	v_fma_f64 v[198:199], v[190:191], 2.0, -v[254:255]
	v_fmac_f64_e32 v[8:9], s[10:11], v[220:221]
	v_fmac_f64_e32 v[10:11], s[8:9], v[222:223]
	;; [unrolled: 4-line block ×3, first 2 shown]
	v_fma_f64 v[170:171], v[170:171], 2.0, -v[238:239]
	v_fma_f64 v[168:169], v[168:169], 2.0, -v[242:243]
	v_fma_f64 v[248:249], s[8:9], v[212:213], v[204:205]
	v_fma_f64 v[250:251], s[8:9], v[214:215], v[206:207]
	v_fma_f64 v[200:201], v[218:219], 2.0, -v[8:9]
	v_fma_f64 v[202:203], v[216:217], 2.0, -v[10:11]
	v_fma_f64 v[188:189], s[8:9], v[196:197], v[192:193]
	v_fma_f64 v[190:191], s[8:9], v[198:199], v[194:195]
	v_fma_f64 v[4:5], v[4:5], 2.0, -v[184:185]
	v_fma_f64 v[6:7], v[6:7], 2.0, -v[186:187]
	v_fmac_f64_e32 v[248:249], s[10:11], v[214:215]
	v_fmac_f64_e32 v[250:251], s[8:9], v[212:213]
	;; [unrolled: 1-line block ×4, first 2 shown]
	v_fma_f64 v[196:197], s[12:13], v[200:201], v[170:171]
	v_fma_f64 v[198:199], s[12:13], v[202:203], v[168:169]
	v_add_f64 v[224:225], v[4:5], -v[176:177]
	v_add_f64 v[226:227], v[6:7], -v[178:179]
	v_fma_f64 v[0:1], v[0:1], 2.0, -v[228:229]
	v_fma_f64 v[2:3], v[2:3], 2.0, -v[230:231]
	v_add_f64 v[208:209], v[172:173], -v[180:181]
	v_add_f64 v[210:211], v[174:175], -v[182:183]
	v_fma_f64 v[184:185], v[204:205], 2.0, -v[248:249]
	v_fma_f64 v[186:187], v[206:207], 2.0, -v[250:251]
	v_fmac_f64_e32 v[196:197], s[18:19], v[202:203]
	v_fmac_f64_e32 v[198:199], s[16:17], v[200:201]
	v_fma_f64 v[4:5], v[4:5], 2.0, -v[224:225]
	v_fma_f64 v[6:7], v[6:7], 2.0, -v[226:227]
	;; [unrolled: 1-line block ×4, first 2 shown]
	v_fma_f64 v[180:181], s[16:17], v[184:185], v[0:1]
	v_fma_f64 v[182:183], s[16:17], v[186:187], v[2:3]
	v_fma_f64 v[200:201], v[170:171], 2.0, -v[196:197]
	v_fma_f64 v[202:203], v[168:169], 2.0, -v[198:199]
	v_fma_f64 v[212:213], s[14:15], v[248:249], v[228:229]
	v_fma_f64 v[214:215], s[14:15], v[250:251], v[230:231]
	;; [unrolled: 1-line block ×6, first 2 shown]
	v_add_f64 v[172:173], v[4:5], -v[172:173]
	v_add_f64 v[174:175], v[6:7], -v[174:175]
	v_fmac_f64_e32 v[180:181], s[14:15], v[186:187]
	v_fmac_f64_e32 v[182:183], s[12:13], v[184:185]
	v_add_f64 v[204:205], v[224:225], v[210:211]
	v_add_f64 v[206:207], v[226:227], -v[208:209]
	v_fmac_f64_e32 v[212:213], s[18:19], v[250:251]
	v_fmac_f64_e32 v[214:215], s[16:17], v[248:249]
	v_fmac_f64_e32 v[220:221], s[10:11], v[254:255]
	v_fmac_f64_e32 v[222:223], s[8:9], v[252:253]
	v_fmac_f64_e32 v[168:169], s[14:15], v[10:11]
	v_fmac_f64_e32 v[170:171], s[12:13], v[8:9]
	v_fma_f64 v[176:177], v[4:5], 2.0, -v[172:173]
	v_fma_f64 v[178:179], v[6:7], 2.0, -v[174:175]
	;; [unrolled: 1-line block ×14, first 2 shown]
	s_barrier
	ds_write_b128 v233, v[176:179]
	ds_write_b128 v233, v[184:187] offset:16
	ds_write_b128 v233, v[192:195] offset:32
	;; [unrolled: 1-line block ×15, first 2 shown]
	s_waitcnt lgkmcnt(0)
	s_barrier
	ds_read_b128 v[180:183], v232
	ds_read_b128 v[228:231], v232 offset:4096
	ds_read_b128 v[224:227], v232 offset:8192
	;; [unrolled: 1-line block ×14, first 2 shown]
	s_and_saveexec_b64 s[0:1], vcc
	s_cbranch_execz .LBB0_7
; %bb.6:
	ds_read_b128 v[168:171], v232 offset:3840
	ds_read_b128 v[92:95], v232 offset:7936
	ds_read_b128 v[100:103], v232 offset:12032
	ds_read_b128 v[104:107], v232 offset:16128
	ds_read_b128 v[96:99], v232 offset:20224
.LBB0_7:
	s_or_b64 exec, exec, s[0:1]
	s_waitcnt lgkmcnt(11)
	v_mul_f64 v[8:9], v[74:75], v[214:215]
	v_fmac_f64_e32 v[8:9], v[90:91], v[212:213]
	v_mul_f64 v[10:11], v[74:75], v[212:213]
	s_waitcnt lgkmcnt(10)
	v_mul_f64 v[212:213], v[78:79], v[194:195]
	v_fmac_f64_e32 v[212:213], v[86:87], v[192:193]
	v_mul_f64 v[192:193], v[78:79], v[192:193]
	v_mul_f64 v[4:5], v[70:71], v[226:227]
	;; [unrolled: 1-line block ×3, first 2 shown]
	v_fma_f64 v[10:11], v[90:91], v[214:215], -v[10:11]
	v_fma_f64 v[214:215], v[86:87], v[194:195], -v[192:193]
	s_waitcnt lgkmcnt(8)
	v_mul_f64 v[192:193], v[66:67], v[216:217]
	v_fmac_f64_e32 v[4:5], v[82:83], v[224:225]
	v_fma_f64 v[6:7], v[82:83], v[226:227], -v[6:7]
	v_mul_f64 v[224:225], v[66:67], v[218:219]
	v_fma_f64 v[226:227], v[240:241], v[218:219], -v[192:193]
	s_waitcnt lgkmcnt(7)
	v_mul_f64 v[218:219], v[70:71], v[222:223]
	v_mul_f64 v[192:193], v[70:71], v[220:221]
	;; [unrolled: 1-line block ×3, first 2 shown]
	v_fmac_f64_e32 v[218:219], v[82:83], v[220:221]
	v_fma_f64 v[220:221], v[82:83], v[222:223], -v[192:193]
	s_waitcnt lgkmcnt(6)
	v_mul_f64 v[192:193], v[74:75], v[200:201]
	v_fmac_f64_e32 v[0:1], v[240:241], v[228:229]
	v_mul_f64 v[2:3], v[66:67], v[228:229]
	v_mul_f64 v[222:223], v[74:75], v[202:203]
	v_fma_f64 v[228:229], v[90:91], v[202:203], -v[192:193]
	s_waitcnt lgkmcnt(2)
	v_mul_f64 v[202:203], v[70:71], v[198:199]
	v_mul_f64 v[70:71], v[70:71], v[196:197]
	v_fmac_f64_e32 v[202:203], v[82:83], v[196:197]
	v_fma_f64 v[70:71], v[82:83], v[198:199], -v[70:71]
	s_waitcnt lgkmcnt(1)
	v_mul_f64 v[82:83], v[74:75], v[190:191]
	v_mul_f64 v[74:75], v[74:75], v[188:189]
	v_fma_f64 v[2:3], v[240:241], v[230:231], -v[2:3]
	v_fmac_f64_e32 v[222:223], v[90:91], v[200:201]
	v_mul_f64 v[230:231], v[78:79], v[206:207]
	v_mul_f64 v[192:193], v[78:79], v[204:205]
	v_fmac_f64_e32 v[82:83], v[90:91], v[188:189]
	v_fma_f64 v[74:75], v[90:91], v[190:191], -v[74:75]
	s_waitcnt lgkmcnt(0)
	v_mul_f64 v[90:91], v[78:79], v[186:187]
	v_mul_f64 v[78:79], v[78:79], v[184:185]
	v_fmac_f64_e32 v[230:231], v[86:87], v[204:205]
	v_fma_f64 v[234:235], v[86:87], v[206:207], -v[192:193]
	v_fmac_f64_e32 v[90:91], v[86:87], v[184:185]
	v_fma_f64 v[78:79], v[86:87], v[186:187], -v[78:79]
	v_add_f64 v[86:87], v[180:181], v[0:1]
	v_add_f64 v[86:87], v[86:87], v[4:5]
	;; [unrolled: 1-line block ×5, first 2 shown]
	s_mov_b32 s0, 0x134454ff
	v_fma_f64 v[184:185], -0.5, v[86:87], v[180:181]
	v_add_f64 v[86:87], v[2:3], -v[214:215]
	s_mov_b32 s1, 0xbfee6f0e
	s_mov_b32 s8, 0x4755a5e
	;; [unrolled: 1-line block ×4, first 2 shown]
	v_fma_f64 v[192:193], s[0:1], v[86:87], v[184:185]
	v_add_f64 v[186:187], v[6:7], -v[10:11]
	s_mov_b32 s9, 0xbfe2cf23
	v_add_f64 v[190:191], v[0:1], -v[4:5]
	v_add_f64 v[194:195], v[212:213], -v[8:9]
	s_mov_b32 s10, 0x372fe950
	v_fmac_f64_e32 v[184:185], s[12:13], v[86:87]
	s_mov_b32 s15, 0x3fe2cf23
	s_mov_b32 s14, s8
	v_fmac_f64_e32 v[192:193], s[8:9], v[186:187]
	v_add_f64 v[190:191], v[190:191], v[194:195]
	s_mov_b32 s11, 0x3fd3c6ef
	v_fmac_f64_e32 v[184:185], s[14:15], v[186:187]
	v_fmac_f64_e32 v[192:193], s[10:11], v[190:191]
	;; [unrolled: 1-line block ×3, first 2 shown]
	v_add_f64 v[190:191], v[0:1], v[212:213]
	v_fmac_f64_e32 v[180:181], -0.5, v[190:191]
	v_fma_f64 v[196:197], s[12:13], v[186:187], v[180:181]
	v_fmac_f64_e32 v[180:181], s[0:1], v[186:187]
	v_fmac_f64_e32 v[196:197], s[8:9], v[86:87]
	;; [unrolled: 1-line block ×3, first 2 shown]
	v_add_f64 v[86:87], v[182:183], v[2:3]
	v_add_f64 v[190:191], v[4:5], -v[0:1]
	v_add_f64 v[194:195], v[8:9], -v[212:213]
	v_add_f64 v[86:87], v[86:87], v[6:7]
	v_add_f64 v[190:191], v[190:191], v[194:195]
	;; [unrolled: 1-line block ×3, first 2 shown]
	v_fmac_f64_e32 v[196:197], s[10:11], v[190:191]
	v_fmac_f64_e32 v[180:181], s[10:11], v[190:191]
	v_add_f64 v[190:191], v[86:87], v[214:215]
	v_add_f64 v[86:87], v[6:7], v[10:11]
	v_fma_f64 v[186:187], -0.5, v[86:87], v[182:183]
	v_add_f64 v[0:1], v[0:1], -v[212:213]
	v_fma_f64 v[194:195], s[12:13], v[0:1], v[186:187]
	v_add_f64 v[4:5], v[4:5], -v[8:9]
	v_add_f64 v[8:9], v[2:3], -v[6:7]
	;; [unrolled: 1-line block ×3, first 2 shown]
	v_fmac_f64_e32 v[186:187], s[0:1], v[0:1]
	v_fmac_f64_e32 v[194:195], s[14:15], v[4:5]
	v_add_f64 v[8:9], v[8:9], v[86:87]
	v_fmac_f64_e32 v[186:187], s[8:9], v[4:5]
	v_fmac_f64_e32 v[194:195], s[10:11], v[8:9]
	;; [unrolled: 1-line block ×3, first 2 shown]
	v_add_f64 v[8:9], v[2:3], v[214:215]
	v_fmac_f64_e32 v[182:183], -0.5, v[8:9]
	v_fmac_f64_e32 v[224:225], v[240:241], v[216:217]
	v_fma_f64 v[198:199], s[0:1], v[4:5], v[182:183]
	v_fmac_f64_e32 v[182:183], s[12:13], v[4:5]
	v_fmac_f64_e32 v[198:199], s[14:15], v[0:1]
	;; [unrolled: 1-line block ×3, first 2 shown]
	v_add_f64 v[0:1], v[176:177], v[224:225]
	v_add_f64 v[0:1], v[0:1], v[218:219]
	;; [unrolled: 1-line block ×3, first 2 shown]
	v_mul_f64 v[200:201], v[66:67], v[210:211]
	v_add_f64 v[2:3], v[6:7], -v[2:3]
	v_add_f64 v[6:7], v[10:11], -v[214:215]
	v_add_f64 v[204:205], v[0:1], v[230:231]
	v_add_f64 v[0:1], v[218:219], v[222:223]
	v_fmac_f64_e32 v[200:201], v[240:241], v[208:209]
	v_mul_f64 v[66:67], v[66:67], v[208:209]
	v_add_f64 v[2:3], v[2:3], v[6:7]
	v_fma_f64 v[208:209], -0.5, v[0:1], v[176:177]
	v_add_f64 v[0:1], v[226:227], -v[234:235]
	v_fmac_f64_e32 v[198:199], s[10:11], v[2:3]
	v_fmac_f64_e32 v[182:183], s[10:11], v[2:3]
	v_fma_f64 v[212:213], s[0:1], v[0:1], v[208:209]
	v_add_f64 v[2:3], v[220:221], -v[228:229]
	v_add_f64 v[4:5], v[224:225], -v[218:219]
	;; [unrolled: 1-line block ×3, first 2 shown]
	v_fmac_f64_e32 v[208:209], s[12:13], v[0:1]
	v_fmac_f64_e32 v[212:213], s[8:9], v[2:3]
	v_add_f64 v[4:5], v[4:5], v[6:7]
	v_fmac_f64_e32 v[208:209], s[14:15], v[2:3]
	v_fmac_f64_e32 v[212:213], s[10:11], v[4:5]
	;; [unrolled: 1-line block ×3, first 2 shown]
	v_add_f64 v[4:5], v[224:225], v[230:231]
	v_fmac_f64_e32 v[176:177], -0.5, v[4:5]
	v_fma_f64 v[216:217], s[12:13], v[2:3], v[176:177]
	v_fmac_f64_e32 v[176:177], s[0:1], v[2:3]
	v_fmac_f64_e32 v[216:217], s[8:9], v[0:1]
	;; [unrolled: 1-line block ×3, first 2 shown]
	v_add_f64 v[0:1], v[178:179], v[226:227]
	v_add_f64 v[0:1], v[0:1], v[220:221]
	;; [unrolled: 1-line block ×3, first 2 shown]
	v_add_f64 v[4:5], v[218:219], -v[224:225]
	v_add_f64 v[6:7], v[222:223], -v[230:231]
	v_add_f64 v[206:207], v[0:1], v[234:235]
	v_add_f64 v[0:1], v[220:221], v[228:229]
	v_fma_f64 v[66:67], v[240:241], v[210:211], -v[66:67]
	v_add_f64 v[4:5], v[4:5], v[6:7]
	v_fma_f64 v[210:211], -0.5, v[0:1], v[178:179]
	v_add_f64 v[0:1], v[224:225], -v[230:231]
	v_fmac_f64_e32 v[216:217], s[10:11], v[4:5]
	v_fmac_f64_e32 v[176:177], s[10:11], v[4:5]
	v_fma_f64 v[214:215], s[12:13], v[0:1], v[210:211]
	v_add_f64 v[2:3], v[218:219], -v[222:223]
	v_add_f64 v[4:5], v[226:227], -v[220:221]
	;; [unrolled: 1-line block ×3, first 2 shown]
	v_fmac_f64_e32 v[210:211], s[0:1], v[0:1]
	v_fmac_f64_e32 v[214:215], s[14:15], v[2:3]
	v_add_f64 v[4:5], v[4:5], v[6:7]
	v_fmac_f64_e32 v[210:211], s[8:9], v[2:3]
	v_fmac_f64_e32 v[214:215], s[10:11], v[4:5]
	;; [unrolled: 1-line block ×3, first 2 shown]
	v_add_f64 v[4:5], v[226:227], v[234:235]
	v_fmac_f64_e32 v[178:179], -0.5, v[4:5]
	v_fma_f64 v[218:219], s[0:1], v[2:3], v[178:179]
	v_fmac_f64_e32 v[178:179], s[12:13], v[2:3]
	v_fmac_f64_e32 v[218:219], s[14:15], v[0:1]
	;; [unrolled: 1-line block ×3, first 2 shown]
	v_add_f64 v[0:1], v[172:173], v[200:201]
	v_add_f64 v[0:1], v[0:1], v[202:203]
	v_add_f64 v[0:1], v[0:1], v[82:83]
	v_add_f64 v[4:5], v[220:221], -v[226:227]
	v_add_f64 v[6:7], v[228:229], -v[234:235]
	v_add_f64 v[220:221], v[0:1], v[90:91]
	v_add_f64 v[0:1], v[202:203], v[82:83]
	;; [unrolled: 1-line block ×3, first 2 shown]
	v_fma_f64 v[224:225], -0.5, v[0:1], v[172:173]
	v_add_f64 v[0:1], v[66:67], -v[78:79]
	v_fmac_f64_e32 v[218:219], s[10:11], v[4:5]
	v_fmac_f64_e32 v[178:179], s[10:11], v[4:5]
	v_fma_f64 v[228:229], s[0:1], v[0:1], v[224:225]
	v_add_f64 v[2:3], v[70:71], -v[74:75]
	v_add_f64 v[4:5], v[200:201], -v[202:203]
	;; [unrolled: 1-line block ×3, first 2 shown]
	v_fmac_f64_e32 v[224:225], s[12:13], v[0:1]
	v_fmac_f64_e32 v[228:229], s[8:9], v[2:3]
	v_add_f64 v[4:5], v[4:5], v[6:7]
	v_fmac_f64_e32 v[224:225], s[14:15], v[2:3]
	v_fmac_f64_e32 v[228:229], s[10:11], v[4:5]
	;; [unrolled: 1-line block ×3, first 2 shown]
	v_add_f64 v[4:5], v[200:201], v[90:91]
	v_fmac_f64_e32 v[172:173], -0.5, v[4:5]
	v_fma_f64 v[240:241], s[12:13], v[2:3], v[172:173]
	v_fmac_f64_e32 v[172:173], s[0:1], v[2:3]
	v_fmac_f64_e32 v[240:241], s[8:9], v[0:1]
	;; [unrolled: 1-line block ×3, first 2 shown]
	v_add_f64 v[0:1], v[174:175], v[66:67]
	v_add_f64 v[0:1], v[0:1], v[70:71]
	;; [unrolled: 1-line block ×3, first 2 shown]
	v_add_f64 v[4:5], v[202:203], -v[200:201]
	v_add_f64 v[6:7], v[82:83], -v[90:91]
	v_add_f64 v[222:223], v[0:1], v[78:79]
	v_add_f64 v[0:1], v[70:71], v[74:75]
	;; [unrolled: 1-line block ×3, first 2 shown]
	v_fma_f64 v[226:227], -0.5, v[0:1], v[174:175]
	v_add_f64 v[0:1], v[200:201], -v[90:91]
	v_fmac_f64_e32 v[240:241], s[10:11], v[4:5]
	v_fmac_f64_e32 v[172:173], s[10:11], v[4:5]
	v_fma_f64 v[230:231], s[12:13], v[0:1], v[226:227]
	v_add_f64 v[2:3], v[202:203], -v[82:83]
	v_add_f64 v[4:5], v[66:67], -v[70:71]
	;; [unrolled: 1-line block ×3, first 2 shown]
	v_fmac_f64_e32 v[226:227], s[0:1], v[0:1]
	v_fmac_f64_e32 v[230:231], s[14:15], v[2:3]
	v_add_f64 v[4:5], v[4:5], v[6:7]
	v_fmac_f64_e32 v[226:227], s[8:9], v[2:3]
	v_fmac_f64_e32 v[230:231], s[10:11], v[4:5]
	v_fmac_f64_e32 v[226:227], s[10:11], v[4:5]
	v_add_f64 v[4:5], v[66:67], v[78:79]
	v_fmac_f64_e32 v[174:175], -0.5, v[4:5]
	v_fma_f64 v[242:243], s[0:1], v[2:3], v[174:175]
	v_add_f64 v[4:5], v[70:71], -v[66:67]
	v_add_f64 v[6:7], v[74:75], -v[78:79]
	v_fmac_f64_e32 v[174:175], s[12:13], v[2:3]
	v_fmac_f64_e32 v[242:243], s[14:15], v[0:1]
	v_add_f64 v[4:5], v[4:5], v[6:7]
	v_fmac_f64_e32 v[174:175], s[8:9], v[0:1]
	v_fmac_f64_e32 v[242:243], s[10:11], v[4:5]
	;; [unrolled: 1-line block ×3, first 2 shown]
	s_barrier
	ds_write_b128 v244, v[188:191]
	ds_write_b128 v244, v[192:195] offset:256
	ds_write_b128 v244, v[196:199] offset:512
	ds_write_b128 v244, v[180:183] offset:768
	ds_write_b128 v244, v[184:187] offset:1024
	ds_write_b128 v245, v[204:207]
	ds_write_b128 v245, v[212:215] offset:256
	ds_write_b128 v245, v[216:219] offset:512
	ds_write_b128 v245, v[176:179] offset:768
	ds_write_b128 v245, v[208:211] offset:1024
	;; [unrolled: 5-line block ×3, first 2 shown]
	s_and_saveexec_b64 s[16:17], vcc
	s_cbranch_execz .LBB0_9
; %bb.8:
	v_accvgpr_read_b32 v75, a17
	v_accvgpr_read_b32 v74, a16
	v_mul_f64 v[0:1], v[88:89], v[100:101]
	v_mul_f64 v[2:3], v[80:81], v[92:93]
	;; [unrolled: 1-line block ×4, first 2 shown]
	v_fma_f64 v[0:1], v[68:69], v[102:103], -v[0:1]
	v_fma_f64 v[2:3], v[64:65], v[94:95], -v[2:3]
	;; [unrolled: 1-line block ×4, first 2 shown]
	v_add_f64 v[4:5], v[0:1], -v[2:3]
	v_add_f64 v[10:11], v[6:7], -v[8:9]
	v_add_f64 v[4:5], v[4:5], v[10:11]
	v_mul_f64 v[10:11], v[88:89], v[102:103]
	v_mul_f64 v[84:85], v[84:85], v[106:107]
	v_fmac_f64_e32 v[10:11], v[68:69], v[100:101]
	v_fmac_f64_e32 v[84:85], v[72:73], v[104:105]
	v_add_f64 v[66:67], v[2:3], v[8:9]
	v_mul_f64 v[80:81], v[80:81], v[94:95]
	v_mul_f64 v[86:87], v[74:75], v[98:99]
	v_add_f64 v[68:69], v[10:11], -v[84:85]
	v_fma_f64 v[66:67], -0.5, v[66:67], v[170:171]
	v_fmac_f64_e32 v[80:81], v[64:65], v[92:93]
	v_fmac_f64_e32 v[86:87], v[76:77], v[96:97]
	v_fma_f64 v[70:71], s[12:13], v[68:69], v[66:67]
	v_add_f64 v[64:65], v[80:81], -v[86:87]
	v_fmac_f64_e32 v[66:67], s[0:1], v[68:69]
	v_fmac_f64_e32 v[70:71], s[8:9], v[64:65]
	;; [unrolled: 1-line block ×5, first 2 shown]
	v_add_f64 v[4:5], v[2:3], -v[0:1]
	v_add_f64 v[72:73], v[8:9], -v[6:7]
	v_add_f64 v[4:5], v[4:5], v[72:73]
	v_add_f64 v[72:73], v[0:1], v[6:7]
	v_fma_f64 v[74:75], -0.5, v[72:73], v[170:171]
	v_fma_f64 v[78:79], s[0:1], v[64:65], v[74:75]
	v_fmac_f64_e32 v[74:75], s[12:13], v[64:65]
	v_fmac_f64_e32 v[78:79], s[8:9], v[68:69]
	;; [unrolled: 1-line block ×5, first 2 shown]
	v_add_f64 v[4:5], v[170:171], v[2:3]
	v_add_f64 v[4:5], v[4:5], v[0:1]
	;; [unrolled: 1-line block ×4, first 2 shown]
	v_add_f64 v[4:5], v[10:11], -v[80:81]
	v_add_f64 v[64:65], v[84:85], -v[86:87]
	;; [unrolled: 1-line block ×3, first 2 shown]
	v_add_f64 v[8:9], v[80:81], v[86:87]
	v_add_f64 v[4:5], v[4:5], v[64:65]
	v_fma_f64 v[64:65], -0.5, v[8:9], v[168:169]
	v_add_f64 v[0:1], v[0:1], -v[6:7]
	v_fma_f64 v[68:69], s[0:1], v[0:1], v[64:65]
	v_fmac_f64_e32 v[64:65], s[12:13], v[0:1]
	v_fmac_f64_e32 v[68:69], s[14:15], v[2:3]
	;; [unrolled: 1-line block ×5, first 2 shown]
	v_add_f64 v[4:5], v[80:81], -v[10:11]
	v_add_f64 v[6:7], v[86:87], -v[84:85]
	v_add_f64 v[4:5], v[4:5], v[6:7]
	v_add_f64 v[6:7], v[10:11], v[84:85]
	v_fma_f64 v[72:73], -0.5, v[6:7], v[168:169]
	v_fma_f64 v[76:77], s[12:13], v[2:3], v[72:73]
	v_fmac_f64_e32 v[72:73], s[0:1], v[2:3]
	v_fmac_f64_e32 v[76:77], s[14:15], v[0:1]
	;; [unrolled: 1-line block ×3, first 2 shown]
	v_add_f64 v[0:1], v[168:169], v[80:81]
	v_add_f64 v[0:1], v[0:1], v[10:11]
	;; [unrolled: 1-line block ×4, first 2 shown]
	v_fmac_f64_e32 v[76:77], s[10:11], v[4:5]
	v_fmac_f64_e32 v[72:73], s[10:11], v[4:5]
	ds_write_b128 v232, v[80:83] offset:19200
	ds_write_b128 v232, v[72:75] offset:19456
	;; [unrolled: 1-line block ×5, first 2 shown]
.LBB0_9:
	s_or_b64 exec, exec, s[16:17]
	s_waitcnt lgkmcnt(0)
	s_barrier
	ds_read_b128 v[70:73], v232
	ds_read_b128 v[74:77], v232 offset:1280
	ds_read_b128 v[78:81], v232 offset:2560
	;; [unrolled: 1-line block ×15, first 2 shown]
	s_waitcnt lgkmcnt(14)
	v_mul_f64 v[0:1], v[134:135], v[76:77]
	v_mul_f64 v[2:3], v[134:135], v[74:75]
	s_waitcnt lgkmcnt(13)
	v_mul_f64 v[4:5], v[118:119], v[80:81]
	v_mul_f64 v[6:7], v[118:119], v[78:79]
	v_fmac_f64_e32 v[0:1], v[132:133], v[74:75]
	v_fma_f64 v[2:3], v[132:133], v[76:77], -v[2:3]
	v_fmac_f64_e32 v[4:5], v[116:117], v[78:79]
	v_fma_f64 v[6:7], v[116:117], v[80:81], -v[6:7]
	s_waitcnt lgkmcnt(12)
	v_mul_f64 v[8:9], v[114:115], v[84:85]
	v_mul_f64 v[10:11], v[114:115], v[82:83]
	s_waitcnt lgkmcnt(11)
	v_mul_f64 v[74:75], v[110:111], v[88:89]
	v_mul_f64 v[76:77], v[110:111], v[86:87]
	;; [unrolled: 3-line block ×3, first 2 shown]
	v_fmac_f64_e32 v[8:9], v[112:113], v[82:83]
	v_fma_f64 v[10:11], v[112:113], v[84:85], -v[10:11]
	v_fmac_f64_e32 v[74:75], v[108:109], v[86:87]
	v_fma_f64 v[76:77], v[108:109], v[88:89], -v[76:77]
	;; [unrolled: 2-line block ×3, first 2 shown]
	s_waitcnt lgkmcnt(9)
	v_mul_f64 v[82:83], v[130:131], v[96:97]
	v_mul_f64 v[84:85], v[130:131], v[94:95]
	s_waitcnt lgkmcnt(8)
	v_mul_f64 v[86:87], v[126:127], v[100:101]
	v_mul_f64 v[88:89], v[126:127], v[98:99]
	;; [unrolled: 3-line block ×3, first 2 shown]
	v_accvgpr_read_b32 v196, a2
	v_fmac_f64_e32 v[82:83], v[128:129], v[94:95]
	v_fma_f64 v[84:85], v[128:129], v[96:97], -v[84:85]
	v_fmac_f64_e32 v[86:87], v[124:125], v[98:99]
	v_fma_f64 v[88:89], v[124:125], v[100:101], -v[88:89]
	;; [unrolled: 2-line block ×3, first 2 shown]
	s_waitcnt lgkmcnt(6)
	v_mul_f64 v[94:95], v[162:163], v[170:171]
	v_mul_f64 v[96:97], v[162:163], v[168:169]
	s_waitcnt lgkmcnt(5)
	v_mul_f64 v[98:99], v[146:147], v[174:175]
	v_mul_f64 v[100:101], v[146:147], v[172:173]
	s_waitcnt lgkmcnt(4)
	v_mul_f64 v[102:103], v[142:143], v[178:179]
	v_mul_f64 v[104:105], v[142:143], v[176:177]
	s_waitcnt lgkmcnt(3)
	v_mul_f64 v[106:107], v[138:139], v[182:183]
	v_mul_f64 v[108:109], v[138:139], v[180:181]
	s_waitcnt lgkmcnt(2)
	v_mul_f64 v[110:111], v[166:167], v[186:187]
	v_mul_f64 v[112:113], v[166:167], v[184:185]
	s_waitcnt lgkmcnt(1)
	v_mul_f64 v[114:115], v[158:159], v[190:191]
	v_mul_f64 v[116:117], v[158:159], v[188:189]
	s_waitcnt lgkmcnt(0)
	v_mul_f64 v[118:119], v[154:155], v[194:195]
	v_mul_f64 v[120:121], v[154:155], v[192:193]
	v_mad_u64_u32 v[66:67], s[0:1], s6, v196, 0
	v_fmac_f64_e32 v[94:95], v[160:161], v[168:169]
	v_fma_f64 v[96:97], v[160:161], v[170:171], -v[96:97]
	v_fmac_f64_e32 v[98:99], v[144:145], v[172:173]
	v_fma_f64 v[100:101], v[144:145], v[174:175], -v[100:101]
	;; [unrolled: 2-line block ×7, first 2 shown]
	v_add_f64 v[90:91], v[70:71], -v[90:91]
	v_add_f64 v[92:93], v[72:73], -v[92:93]
	;; [unrolled: 1-line block ×16, first 2 shown]
	s_mov_b32 s0, 0x667f3bcd
	v_mov_b32_e32 v64, s2
	v_mov_b32_e32 v65, s3
	v_fma_f64 v[74:75], v[74:75], 2.0, -v[106:107]
	v_fma_f64 v[76:77], v[76:77], 2.0, -v[108:109]
	v_fma_f64 v[82:83], v[82:83], 2.0, -v[114:115]
	v_fma_f64 v[84:85], v[84:85], 2.0, -v[116:117]
	v_fma_f64 v[78:79], v[78:79], 2.0, -v[110:111]
	v_fma_f64 v[80:81], v[80:81], 2.0, -v[112:113]
	v_fma_f64 v[86:87], v[86:87], 2.0, -v[118:119]
	v_fma_f64 v[88:89], v[88:89], 2.0, -v[120:121]
	v_add_f64 v[108:109], v[90:91], v[108:109]
	v_add_f64 v[106:107], v[92:93], -v[106:107]
	v_add_f64 v[116:117], v[98:99], v[116:117]
	v_add_f64 v[114:115], v[100:101], -v[114:115]
	v_add_f64 v[112:113], v[94:95], v[112:113]
	v_add_f64 v[110:111], v[96:97], -v[110:111]
	v_add_f64 v[120:121], v[102:103], v[120:121]
	v_add_f64 v[118:119], v[104:105], -v[118:119]
	s_mov_b32 s1, 0xbfe6a09e
	s_mov_b32 s3, 0x3fe6a09e
	;; [unrolled: 1-line block ×3, first 2 shown]
	v_fma_f64 v[70:71], v[70:71], 2.0, -v[90:91]
	v_fma_f64 v[72:73], v[72:73], 2.0, -v[92:93]
	;; [unrolled: 1-line block ×16, first 2 shown]
	v_fma_f64 v[134:135], s[2:3], v[116:117], v[108:109]
	v_fma_f64 v[136:137], s[2:3], v[114:115], v[106:107]
	v_add_f64 v[74:75], v[70:71], -v[74:75]
	v_add_f64 v[76:77], v[72:73], -v[76:77]
	;; [unrolled: 1-line block ×8, first 2 shown]
	v_fma_f64 v[126:127], s[0:1], v[98:99], v[90:91]
	v_fma_f64 v[128:129], s[0:1], v[100:101], v[92:93]
	v_fmac_f64_e32 v[134:135], s[2:3], v[114:115]
	v_fmac_f64_e32 v[136:137], s[0:1], v[116:117]
	v_fma_f64 v[114:115], s[0:1], v[102:103], v[94:95]
	v_fma_f64 v[116:117], s[0:1], v[104:105], v[96:97]
	;; [unrolled: 1-line block ×4, first 2 shown]
	s_mov_b32 s8, 0xa6aea964
	v_fma_f64 v[70:71], v[70:71], 2.0, -v[74:75]
	v_fma_f64 v[72:73], v[72:73], 2.0, -v[76:77]
	;; [unrolled: 1-line block ×8, first 2 shown]
	v_fmac_f64_e32 v[126:127], s[2:3], v[100:101]
	v_fmac_f64_e32 v[128:129], s[0:1], v[98:99]
	v_add_f64 v[130:131], v[74:75], v[84:85]
	v_add_f64 v[132:133], v[76:77], -v[82:83]
	v_fmac_f64_e32 v[114:115], s[2:3], v[104:105]
	v_fmac_f64_e32 v[116:117], s[0:1], v[102:103]
	v_add_f64 v[138:139], v[78:79], v[88:89]
	v_add_f64 v[140:141], v[80:81], -v[86:87]
	v_fmac_f64_e32 v[142:143], s[2:3], v[118:119]
	v_fmac_f64_e32 v[144:145], s[0:1], v[120:121]
	s_mov_b32 s10, 0xcf328d46
	s_mov_b32 s9, 0x3fd87de2
	v_add_f64 v[4:5], v[70:71], -v[4:5]
	v_add_f64 v[6:7], v[72:73], -v[6:7]
	v_fma_f64 v[98:99], v[74:75], 2.0, -v[130:131]
	v_fma_f64 v[100:101], v[76:77], 2.0, -v[132:133]
	v_add_f64 v[8:9], v[0:1], -v[8:9]
	v_add_f64 v[10:11], v[2:3], -v[10:11]
	v_fma_f64 v[82:83], v[94:95], 2.0, -v[114:115]
	v_fma_f64 v[84:85], v[96:97], 2.0, -v[116:117]
	v_fma_f64 v[94:95], v[78:79], 2.0, -v[138:139]
	v_fma_f64 v[96:97], v[80:81], 2.0, -v[140:141]
	v_fma_f64 v[102:103], v[112:113], 2.0, -v[142:143]
	v_fma_f64 v[104:105], v[110:111], 2.0, -v[144:145]
	s_mov_b32 s11, 0xbfed906b
	s_mov_b32 s15, 0x3fed906b
	;; [unrolled: 1-line block ×3, first 2 shown]
	v_fma_f64 v[110:111], s[8:9], v[114:115], v[126:127]
	v_fma_f64 v[112:113], s[8:9], v[116:117], v[128:129]
	v_fma_f64 v[122:123], v[70:71], 2.0, -v[4:5]
	v_fma_f64 v[124:125], v[72:73], 2.0, -v[6:7]
	;; [unrolled: 1-line block ×8, first 2 shown]
	s_mov_b32 s13, 0xbfd87de2
	s_mov_b32 s12, s8
	v_fma_f64 v[86:87], s[0:1], v[94:95], v[98:99]
	v_fma_f64 v[88:89], s[0:1], v[96:97], v[100:101]
	v_fmac_f64_e32 v[110:111], s[14:15], v[116:117]
	v_fmac_f64_e32 v[112:113], s[10:11], v[114:115]
	v_add_f64 v[70:71], v[122:123], -v[0:1]
	v_add_f64 v[72:73], v[124:125], -v[2:3]
	v_fma_f64 v[78:79], s[10:11], v[82:83], v[90:91]
	v_fma_f64 v[80:81], s[10:11], v[84:85], v[92:93]
	v_fmac_f64_e32 v[86:87], s[2:3], v[96:97]
	v_fmac_f64_e32 v[88:89], s[0:1], v[94:95]
	v_fma_f64 v[94:95], s[12:13], v[102:103], v[108:109]
	v_fma_f64 v[96:97], s[12:13], v[104:105], v[106:107]
	v_fma_f64 v[114:115], v[126:127], 2.0, -v[110:111]
	v_fma_f64 v[116:117], v[128:129], 2.0, -v[112:113]
	v_fma_f64 v[118:119], s[2:3], v[138:139], v[130:131]
	v_fma_f64 v[120:121], s[2:3], v[140:141], v[132:133]
	;; [unrolled: 1-line block ×4, first 2 shown]
	v_fma_f64 v[74:75], v[122:123], 2.0, -v[70:71]
	v_fma_f64 v[76:77], v[124:125], 2.0, -v[72:73]
	v_fmac_f64_e32 v[78:79], s[8:9], v[84:85]
	v_fmac_f64_e32 v[80:81], s[12:13], v[82:83]
	;; [unrolled: 1-line block ×4, first 2 shown]
	v_add_f64 v[102:103], v[4:5], v[10:11]
	v_add_f64 v[104:105], v[6:7], -v[8:9]
	v_fmac_f64_e32 v[118:119], s[2:3], v[140:141]
	v_fmac_f64_e32 v[120:121], s[0:1], v[138:139]
	;; [unrolled: 1-line block ×4, first 2 shown]
	v_fma_f64 v[82:83], v[90:91], 2.0, -v[78:79]
	v_fma_f64 v[84:85], v[92:93], 2.0, -v[80:81]
	;; [unrolled: 1-line block ×12, first 2 shown]
	ds_write_b128 v232, v[74:77]
	ds_write_b128 v232, v[82:85] offset:1280
	ds_write_b128 v232, v[90:93] offset:2560
	;; [unrolled: 1-line block ×15, first 2 shown]
	s_waitcnt lgkmcnt(0)
	s_barrier
	ds_read_b128 v[70:73], v232
	ds_read_b128 v[74:77], v232 offset:1280
	v_mov_b32_e32 v68, v67
	v_mad_u64_u32 v[0:1], s[0:1], s7, v196, v[68:69]
	v_mov_b32_e32 v67, v0
	s_waitcnt lgkmcnt(1)
	v_mul_f64 v[0:1], v[14:15], v[72:73]
	s_mov_b32 s0, 0x9999999a
	v_fmac_f64_e32 v[0:1], v[12:13], v[70:71]
	s_mov_b32 s1, 0x3f499999
	v_mul_f64 v[68:69], v[0:1], s[0:1]
	v_mul_f64 v[0:1], v[14:15], v[70:71]
	v_fma_f64 v[0:1], v[12:13], v[72:73], -v[0:1]
	v_accvgpr_read_b32 v4, a0
	v_mul_f64 v[70:71], v[0:1], s[0:1]
	v_mad_u64_u32 v[0:1], s[2:3], s4, v4, 0
	v_mov_b32_e32 v2, v1
	v_mad_u64_u32 v[2:3], s[2:3], s5, v4, v[2:3]
	v_accvgpr_read_b32 v4, a4
	v_accvgpr_read_b32 v6, a6
	;; [unrolled: 1-line block ×3, first 2 shown]
	v_mov_b32_e32 v1, v2
	v_accvgpr_read_b32 v5, a5
	s_waitcnt lgkmcnt(0)
	v_mul_f64 v[2:3], v[6:7], v[76:77]
	v_lshl_add_u64 v[12:13], v[66:67], 4, v[64:65]
	v_fmac_f64_e32 v[2:3], v[4:5], v[74:75]
	v_lshl_add_u64 v[0:1], v[0:1], 4, v[12:13]
	v_mul_f64 v[64:65], v[2:3], s[0:1]
	v_mul_f64 v[2:3], v[6:7], v[74:75]
	global_store_dwordx4 v[0:1], v[68:71], off
	v_fma_f64 v[2:3], v[4:5], v[76:77], -v[2:3]
	v_mul_f64 v[66:67], v[2:3], s[0:1]
	v_mov_b32_e32 v68, 0x500
	v_mad_u64_u32 v[4:5], s[2:3], s4, v68, v[0:1]
	ds_read_b128 v[0:3], v232 offset:2560
	s_mul_i32 s2, s5, 0x500
	v_add_u32_e32 v5, s2, v5
	global_store_dwordx4 v[4:5], v[64:67], off
	ds_read_b128 v[64:67], v232 offset:3840
	s_waitcnt lgkmcnt(1)
	v_mul_f64 v[6:7], v[18:19], v[2:3]
	v_fmac_f64_e32 v[6:7], v[16:17], v[0:1]
	v_mul_f64 v[14:15], v[6:7], s[0:1]
	v_mul_f64 v[0:1], v[18:19], v[0:1]
	v_accvgpr_read_b32 v6, a12
	v_fma_f64 v[0:1], v[16:17], v[2:3], -v[0:1]
	v_accvgpr_read_b32 v8, a14
	v_accvgpr_read_b32 v9, a15
	v_mul_f64 v[16:17], v[0:1], s[0:1]
	v_mad_u64_u32 v[4:5], s[6:7], s4, v68, v[4:5]
	s_waitcnt lgkmcnt(0)
	v_mul_f64 v[0:1], v[8:9], v[66:67]
	v_mul_f64 v[2:3], v[8:9], v[64:65]
	ds_read_b128 v[8:11], v232 offset:5120
	v_add_u32_e32 v5, s2, v5
	v_accvgpr_read_b32 v7, a13
	global_store_dwordx4 v[4:5], v[14:17], off
	v_fmac_f64_e32 v[0:1], v[6:7], v[64:65]
	v_fma_f64 v[2:3], v[6:7], v[66:67], -v[2:3]
	v_mad_u64_u32 v[4:5], s[6:7], s4, v68, v[4:5]
	v_mul_f64 v[0:1], v[0:1], s[0:1]
	v_mul_f64 v[2:3], v[2:3], s[0:1]
	v_add_u32_e32 v5, s2, v5
	global_store_dwordx4 v[4:5], v[0:3], off
	ds_read_b128 v[0:3], v232 offset:6400
	s_waitcnt lgkmcnt(1)
	v_mul_f64 v[6:7], v[62:63], v[10:11]
	v_fmac_f64_e32 v[6:7], v[60:61], v[8:9]
	v_mul_f64 v[14:15], v[6:7], s[0:1]
	v_mul_f64 v[6:7], v[62:63], v[8:9]
	v_fma_f64 v[6:7], v[60:61], v[10:11], -v[6:7]
	v_mul_f64 v[16:17], v[6:7], s[0:1]
	s_waitcnt lgkmcnt(0)
	v_mul_f64 v[6:7], v[58:59], v[2:3]
	v_fmac_f64_e32 v[6:7], v[56:57], v[0:1]
	v_mul_f64 v[0:1], v[58:59], v[0:1]
	v_mad_u64_u32 v[4:5], s[6:7], s4, v68, v[4:5]
	v_fma_f64 v[0:1], v[56:57], v[2:3], -v[0:1]
	v_add_u32_e32 v5, s2, v5
	v_mul_f64 v[10:11], v[0:1], s[0:1]
	ds_read_b128 v[0:3], v232 offset:7680
	global_store_dwordx4 v[4:5], v[14:17], off
	v_mad_u64_u32 v[4:5], s[6:7], s4, v68, v[4:5]
	v_mul_f64 v[8:9], v[6:7], s[0:1]
	v_add_u32_e32 v5, s2, v5
	global_store_dwordx4 v[4:5], v[8:11], off
	ds_read_b128 v[8:11], v232 offset:8960
	s_waitcnt lgkmcnt(1)
	v_mul_f64 v[6:7], v[50:51], v[2:3]
	v_fmac_f64_e32 v[6:7], v[48:49], v[0:1]
	v_mul_f64 v[0:1], v[50:51], v[0:1]
	v_fma_f64 v[0:1], v[48:49], v[2:3], -v[0:1]
	v_mul_f64 v[16:17], v[0:1], s[0:1]
	s_waitcnt lgkmcnt(0)
	v_mul_f64 v[0:1], v[34:35], v[10:11]
	v_mul_f64 v[2:3], v[34:35], v[8:9]
	v_fmac_f64_e32 v[0:1], v[32:33], v[8:9]
	v_fma_f64 v[2:3], v[32:33], v[10:11], -v[2:3]
	ds_read_b128 v[8:11], v232 offset:10240
	v_mad_u64_u32 v[4:5], s[6:7], s4, v68, v[4:5]
	v_add_u32_e32 v5, s2, v5
	v_mad_u64_u32 v[18:19], s[6:7], s4, v68, v[4:5]
	v_accvgpr_read_b32 v35, a11
	v_mul_f64 v[14:15], v[6:7], s[0:1]
	v_mul_f64 v[0:1], v[0:1], s[0:1]
	;; [unrolled: 1-line block ×3, first 2 shown]
	v_add_u32_e32 v19, s2, v19
	v_accvgpr_read_b32 v34, a10
	global_store_dwordx4 v[4:5], v[14:17], off
	global_store_dwordx4 v[18:19], v[0:3], off
	ds_read_b128 v[0:3], v232 offset:11520
	v_accvgpr_read_b32 v33, a9
	v_accvgpr_read_b32 v32, a8
	s_waitcnt lgkmcnt(1)
	v_mul_f64 v[4:5], v[34:35], v[10:11]
	v_fmac_f64_e32 v[4:5], v[32:33], v[8:9]
	v_mul_f64 v[14:15], v[4:5], s[0:1]
	v_mul_f64 v[4:5], v[34:35], v[8:9]
	v_fma_f64 v[4:5], v[32:33], v[10:11], -v[4:5]
	v_accvgpr_read_b32 v7, a1
	v_mul_f64 v[16:17], v[4:5], s[0:1]
	v_mad_u64_u32 v[4:5], s[6:7], s4, v7, 0
	v_mov_b32_e32 v6, v5
	v_mad_u64_u32 v[6:7], s[6:7], s5, v7, v[6:7]
	v_mov_b32_e32 v5, v6
	v_lshl_add_u64 v[4:5], v[4:5], 4, v[12:13]
	global_store_dwordx4 v[4:5], v[14:17], off
	s_waitcnt lgkmcnt(0)
	v_mul_f64 v[4:5], v[38:39], v[2:3]
	v_fmac_f64_e32 v[4:5], v[36:37], v[0:1]
	v_mul_f64 v[0:1], v[38:39], v[0:1]
	v_fma_f64 v[0:1], v[36:37], v[2:3], -v[0:1]
	v_mul_f64 v[6:7], v[0:1], s[0:1]
	v_mov_b32_e32 v0, 0xa00
	v_mad_u64_u32 v[12:13], s[6:7], s4, v0, v[18:19]
	ds_read_b128 v[0:3], v232 offset:12800
	s_mul_i32 s3, s5, 0xa00
	v_mul_f64 v[4:5], v[4:5], s[0:1]
	v_add_u32_e32 v13, s3, v13
	global_store_dwordx4 v[12:13], v[4:7], off
	ds_read_b128 v[4:7], v232 offset:14080
	s_waitcnt lgkmcnt(1)
	v_mul_f64 v[8:9], v[26:27], v[2:3]
	v_fmac_f64_e32 v[8:9], v[24:25], v[0:1]
	v_mul_f64 v[0:1], v[26:27], v[0:1]
	v_fma_f64 v[0:1], v[24:25], v[2:3], -v[0:1]
	v_mul_f64 v[10:11], v[0:1], s[0:1]
	v_mad_u64_u32 v[12:13], s[6:7], s4, v68, v[12:13]
	s_waitcnt lgkmcnt(0)
	v_mul_f64 v[0:1], v[54:55], v[6:7]
	v_mul_f64 v[2:3], v[54:55], v[4:5]
	;; [unrolled: 1-line block ×3, first 2 shown]
	v_add_u32_e32 v13, s2, v13
	v_fmac_f64_e32 v[0:1], v[52:53], v[4:5]
	v_fma_f64 v[2:3], v[52:53], v[6:7], -v[2:3]
	ds_read_b128 v[4:7], v232 offset:15360
	global_store_dwordx4 v[12:13], v[8:11], off
	v_mad_u64_u32 v[12:13], s[6:7], s4, v68, v[12:13]
	v_mul_f64 v[0:1], v[0:1], s[0:1]
	v_mul_f64 v[2:3], v[2:3], s[0:1]
	v_add_u32_e32 v13, s2, v13
	global_store_dwordx4 v[12:13], v[0:3], off
	ds_read_b128 v[0:3], v232 offset:16640
	s_waitcnt lgkmcnt(1)
	v_mul_f64 v[8:9], v[22:23], v[6:7]
	v_fmac_f64_e32 v[8:9], v[20:21], v[4:5]
	v_mul_f64 v[4:5], v[22:23], v[4:5]
	v_fma_f64 v[4:5], v[20:21], v[6:7], -v[4:5]
	v_mul_f64 v[10:11], v[4:5], s[0:1]
	s_waitcnt lgkmcnt(0)
	v_mul_f64 v[4:5], v[46:47], v[2:3]
	v_fmac_f64_e32 v[4:5], v[44:45], v[0:1]
	v_mul_f64 v[0:1], v[46:47], v[0:1]
	v_mad_u64_u32 v[12:13], s[6:7], s4, v68, v[12:13]
	v_fma_f64 v[0:1], v[44:45], v[2:3], -v[0:1]
	v_mul_f64 v[8:9], v[8:9], s[0:1]
	v_add_u32_e32 v13, s2, v13
	v_mul_f64 v[6:7], v[0:1], s[0:1]
	ds_read_b128 v[0:3], v232 offset:17920
	global_store_dwordx4 v[12:13], v[8:11], off
	v_mad_u64_u32 v[12:13], s[6:7], s4, v68, v[12:13]
	v_mul_f64 v[4:5], v[4:5], s[0:1]
	v_add_u32_e32 v13, s2, v13
	global_store_dwordx4 v[12:13], v[4:7], off
	ds_read_b128 v[4:7], v232 offset:19200
	s_waitcnt lgkmcnt(1)
	v_mul_f64 v[8:9], v[30:31], v[2:3]
	v_fmac_f64_e32 v[8:9], v[28:29], v[0:1]
	v_mul_f64 v[0:1], v[30:31], v[0:1]
	v_fma_f64 v[0:1], v[28:29], v[2:3], -v[0:1]
	v_mul_f64 v[10:11], v[0:1], s[0:1]
	v_mad_u64_u32 v[12:13], s[6:7], s4, v68, v[12:13]
	s_waitcnt lgkmcnt(0)
	v_mul_f64 v[0:1], v[42:43], v[6:7]
	v_mul_f64 v[2:3], v[42:43], v[4:5]
	v_add_u32_e32 v13, s2, v13
	v_fmac_f64_e32 v[0:1], v[40:41], v[4:5]
	v_fma_f64 v[2:3], v[40:41], v[6:7], -v[2:3]
	v_mul_f64 v[8:9], v[8:9], s[0:1]
	v_mul_f64 v[0:1], v[0:1], s[0:1]
	;; [unrolled: 1-line block ×3, first 2 shown]
	v_mad_u64_u32 v[4:5], s[0:1], s4, v68, v[12:13]
	v_add_u32_e32 v5, s2, v5
	global_store_dwordx4 v[12:13], v[8:11], off
	global_store_dwordx4 v[4:5], v[0:3], off
.LBB0_10:
	s_endpgm
	.section	.rodata,"a",@progbits
	.p2align	6, 0x0
	.amdhsa_kernel bluestein_single_back_len1280_dim1_dp_op_CI_CI
		.amdhsa_group_segment_fixed_size 20480
		.amdhsa_private_segment_fixed_size 0
		.amdhsa_kernarg_size 104
		.amdhsa_user_sgpr_count 2
		.amdhsa_user_sgpr_dispatch_ptr 0
		.amdhsa_user_sgpr_queue_ptr 0
		.amdhsa_user_sgpr_kernarg_segment_ptr 1
		.amdhsa_user_sgpr_dispatch_id 0
		.amdhsa_user_sgpr_kernarg_preload_length 0
		.amdhsa_user_sgpr_kernarg_preload_offset 0
		.amdhsa_user_sgpr_private_segment_size 0
		.amdhsa_uses_dynamic_stack 0
		.amdhsa_enable_private_segment 0
		.amdhsa_system_sgpr_workgroup_id_x 1
		.amdhsa_system_sgpr_workgroup_id_y 0
		.amdhsa_system_sgpr_workgroup_id_z 0
		.amdhsa_system_sgpr_workgroup_info 0
		.amdhsa_system_vgpr_workitem_id 0
		.amdhsa_next_free_vgpr 274
		.amdhsa_next_free_sgpr 22
		.amdhsa_accum_offset 256
		.amdhsa_reserve_vcc 1
		.amdhsa_float_round_mode_32 0
		.amdhsa_float_round_mode_16_64 0
		.amdhsa_float_denorm_mode_32 3
		.amdhsa_float_denorm_mode_16_64 3
		.amdhsa_dx10_clamp 1
		.amdhsa_ieee_mode 1
		.amdhsa_fp16_overflow 0
		.amdhsa_tg_split 0
		.amdhsa_exception_fp_ieee_invalid_op 0
		.amdhsa_exception_fp_denorm_src 0
		.amdhsa_exception_fp_ieee_div_zero 0
		.amdhsa_exception_fp_ieee_overflow 0
		.amdhsa_exception_fp_ieee_underflow 0
		.amdhsa_exception_fp_ieee_inexact 0
		.amdhsa_exception_int_div_zero 0
	.end_amdhsa_kernel
	.text
.Lfunc_end0:
	.size	bluestein_single_back_len1280_dim1_dp_op_CI_CI, .Lfunc_end0-bluestein_single_back_len1280_dim1_dp_op_CI_CI
                                        ; -- End function
	.section	.AMDGPU.csdata,"",@progbits
; Kernel info:
; codeLenInByte = 15796
; NumSgprs: 28
; NumVgprs: 256
; NumAgprs: 18
; TotalNumVgprs: 274
; ScratchSize: 0
; MemoryBound: 0
; FloatMode: 240
; IeeeMode: 1
; LDSByteSize: 20480 bytes/workgroup (compile time only)
; SGPRBlocks: 3
; VGPRBlocks: 34
; NumSGPRsForWavesPerEU: 28
; NumVGPRsForWavesPerEU: 274
; AccumOffset: 256
; Occupancy: 1
; WaveLimiterHint : 1
; COMPUTE_PGM_RSRC2:SCRATCH_EN: 0
; COMPUTE_PGM_RSRC2:USER_SGPR: 2
; COMPUTE_PGM_RSRC2:TRAP_HANDLER: 0
; COMPUTE_PGM_RSRC2:TGID_X_EN: 1
; COMPUTE_PGM_RSRC2:TGID_Y_EN: 0
; COMPUTE_PGM_RSRC2:TGID_Z_EN: 0
; COMPUTE_PGM_RSRC2:TIDIG_COMP_CNT: 0
; COMPUTE_PGM_RSRC3_GFX90A:ACCUM_OFFSET: 63
; COMPUTE_PGM_RSRC3_GFX90A:TG_SPLIT: 0
	.text
	.p2alignl 6, 3212836864
	.fill 256, 4, 3212836864
	.type	__hip_cuid_e016b618fea54bf6,@object ; @__hip_cuid_e016b618fea54bf6
	.section	.bss,"aw",@nobits
	.globl	__hip_cuid_e016b618fea54bf6
__hip_cuid_e016b618fea54bf6:
	.byte	0                               ; 0x0
	.size	__hip_cuid_e016b618fea54bf6, 1

	.ident	"AMD clang version 19.0.0git (https://github.com/RadeonOpenCompute/llvm-project roc-6.4.0 25133 c7fe45cf4b819c5991fe208aaa96edf142730f1d)"
	.section	".note.GNU-stack","",@progbits
	.addrsig
	.addrsig_sym __hip_cuid_e016b618fea54bf6
	.amdgpu_metadata
---
amdhsa.kernels:
  - .agpr_count:     18
    .args:
      - .actual_access:  read_only
        .address_space:  global
        .offset:         0
        .size:           8
        .value_kind:     global_buffer
      - .actual_access:  read_only
        .address_space:  global
        .offset:         8
        .size:           8
        .value_kind:     global_buffer
      - .actual_access:  read_only
        .address_space:  global
        .offset:         16
        .size:           8
        .value_kind:     global_buffer
      - .actual_access:  read_only
        .address_space:  global
        .offset:         24
        .size:           8
        .value_kind:     global_buffer
      - .actual_access:  read_only
        .address_space:  global
        .offset:         32
        .size:           8
        .value_kind:     global_buffer
      - .offset:         40
        .size:           8
        .value_kind:     by_value
      - .address_space:  global
        .offset:         48
        .size:           8
        .value_kind:     global_buffer
      - .address_space:  global
        .offset:         56
        .size:           8
        .value_kind:     global_buffer
      - .address_space:  global
        .offset:         64
        .size:           8
        .value_kind:     global_buffer
      - .address_space:  global
        .offset:         72
        .size:           8
        .value_kind:     global_buffer
      - .offset:         80
        .size:           4
        .value_kind:     by_value
      - .address_space:  global
        .offset:         88
        .size:           8
        .value_kind:     global_buffer
      - .address_space:  global
        .offset:         96
        .size:           8
        .value_kind:     global_buffer
    .group_segment_fixed_size: 20480
    .kernarg_segment_align: 8
    .kernarg_segment_size: 104
    .language:       OpenCL C
    .language_version:
      - 2
      - 0
    .max_flat_workgroup_size: 80
    .name:           bluestein_single_back_len1280_dim1_dp_op_CI_CI
    .private_segment_fixed_size: 0
    .sgpr_count:     28
    .sgpr_spill_count: 0
    .symbol:         bluestein_single_back_len1280_dim1_dp_op_CI_CI.kd
    .uniform_work_group_size: 1
    .uses_dynamic_stack: false
    .vgpr_count:     274
    .vgpr_spill_count: 0
    .wavefront_size: 64
amdhsa.target:   amdgcn-amd-amdhsa--gfx950
amdhsa.version:
  - 1
  - 2
...

	.end_amdgpu_metadata
